;; amdgpu-corpus repo=ROCm/aiter kind=harvested arch=n/a opt=n/a

/root/src/amdgpu-assembly/repos/ROCm__aiter/hsa/gfx950/fmoe/gelu/fmoe_bf16_blockscaleFp8_g1u1_vs_gelu_32x384.co:	file format elf64-amdgpu

Disassembly of section .text:

0000000000002e00 <_ZN5aiter43fmoe_bf16_blockscaleFp8_g1u1_vs_gelu_32x384E>:
	s_and_b32 s1, s1, 0xffff                                   // 000000002E00: 8601FF01 0000FFFF
	s_load_dwordx2 s[8:9], s[0:1], 0x0                         // 000000002E08: C0060200 00000000
	s_load_dwordx2 s[20:21], s[0:1], 0x10                      // 000000002E10: C0060500 00000010
	s_load_dwordx2 s[24:25], s[0:1], 0x20                      // 000000002E18: C0060600 00000020
	s_load_dwordx2 s[50:51], s[0:1], 0x30                      // 000000002E20: C0060C80 00000030
	s_load_dwordx2 s[12:13], s[0:1], 0x40                      // 000000002E28: C0060300 00000040
	s_load_dwordx2 s[28:29], s[0:1], 0x50                      // 000000002E30: C0060700 00000050
	s_load_dwordx2 s[32:33], s[0:1], 0x60                      // 000000002E38: C0060800 00000060
	s_load_dwordx2 s[16:17], s[0:1], 0x70                      // 000000002E40: C0060400 00000070
	s_load_dwordx2 s[36:37], s[0:1], 0x80                      // 000000002E48: C0060900 00000080
	s_load_dwordx2 s[44:45], s[0:1], 0x90                      // 000000002E50: C0060B00 00000090
	s_load_dwordx2 s[40:41], s[0:1], 0xa0                      // 000000002E58: C0060A00 000000A0
	s_load_dwordx2 s[46:47], s[0:1], 0xb0                      // 000000002E60: C0060B80 000000B0
	s_load_dword s64, s[0:1], 0xc0                             // 000000002E68: C0021000 000000C0
	s_load_dword s65, s[0:1], 0xd0                             // 000000002E70: C0021040 000000D0
	s_load_dword s66, s[0:1], 0xe0                             // 000000002E78: C0021080 000000E0
	s_load_dword s67, s[0:1], 0xf0                             // 000000002E80: C00210C0 000000F0
	s_load_dword s68, s[0:1], 0x100                            // 000000002E88: C0021100 00000100
	s_load_dword s69, s[0:1], 0x110                            // 000000002E90: C0021140 00000110
	s_load_dword s70, s[0:1], 0x120                            // 000000002E98: C0021180 00000120
	s_load_dword s71, s[0:1], 0x130                            // 000000002EA0: C00211C0 00000130
	s_load_dword s72, s[0:1], 0x140                            // 000000002EA8: C0021200 00000140
	s_load_dword s73, s[0:1], 0x150                            // 000000002EB0: C0021240 00000150
	s_load_dword s74, s[0:1], 0x160                            // 000000002EB8: C0021280 00000160
	s_load_dword s75, s[0:1], 0x170                            // 000000002EC0: C00212C0 00000170
	s_load_dword s76, s[0:1], 0x180                            // 000000002EC8: C0021300 00000180
	v_lshrrev_b32_e32 v1, 10, v0                               // 000000002ED0: 2002008A
	v_lshrrev_b32_e32 v2, 10, v1                               // 000000002ED4: 2004028A
	v_and_b32_e32 v2, 0x3ff, v2                                // 000000002ED8: 260404FF 000003FF
	v_and_b32_e32 v1, 0x3ff, v1                                // 000000002EE0: 260202FF 000003FF
	v_and_b32_e32 v0, 0x3ff, v0                                // 000000002EE8: 260000FF 000003FF
	v_lshrrev_b32_e32 v3, 6, v0                                // 000000002EF0: 20060086
	v_and_b32_e32 v0, 63, v0                                   // 000000002EF4: 260000BF
	s_mov_b32 s2, s2                                           // 000000002EF8: BE820002
	s_mov_b32 s3, s3                                           // 000000002EFC: BE830003
	s_mov_b32 s4, s4                                           // 000000002F00: BE840004
	v_readfirstlane_b32 s7, v3                                 // 000000002F04: 7E0E0503
	s_waitcnt lgkmcnt(0)                                       // 000000002F08: BF8CC07F
	s_and_b32 s51, s51, 0xffff                                 // 000000002F0C: 8633FF33 0000FFFF
	s_load_dword s50, s[50:51], 0x0                            // 000000002F14: C0020C99 00000000
	s_and_b32 s45, s45, 0xffff                                 // 000000002F1C: 862DFF2D 0000FFFF
	s_and_b32 s47, s47, 0xffff                                 // 000000002F24: 862FFF2F 0000FFFF
	s_and_b32 s9, s9, 0xffff                                   // 000000002F2C: 8609FF09 0000FFFF
	s_mul_i32 s60, s66, s68                                    // 000000002F34: 923C4442
	s_mul_i32 s61, s66, 4                                      // 000000002F38: 923D8442
	s_mov_b32 s22, s60                                         // 000000002F3C: BE96003C
	s_mov_b32 s26, -16                                         // 000000002F40: BE9A00D0
	s_mov_b32 s14, -16                                         // 000000002F44: BE8E00D0
	s_mov_b32 s42, -16                                         // 000000002F48: BEAA00D0
	s_mov_b32 s30, -16                                         // 000000002F4C: BE9E00D0
	s_mov_b32 s34, -16                                         // 000000002F50: BEA200D0
	s_mov_b32 s38, -16                                         // 000000002F54: BEA600D0
	s_mov_b32 s18, -16                                         // 000000002F58: BE9200D0
	s_mul_i32 s60, s66, s71                                    // 000000002F5C: 923C4742
	s_mov_b32 s10, s60                                         // 000000002F60: BE8A003C
	s_mov_b32 s23, 0x20000                                     // 000000002F64: BE9700FF 00020000
	s_mov_b32 s27, 0x20000                                     // 000000002F6C: BE9B00FF 00020000
	s_mov_b32 s15, 0x20000                                     // 000000002F74: BE8F00FF 00020000
	s_mov_b32 s43, 0x20000                                     // 000000002F7C: BEAB00FF 00020000
	s_mov_b32 s31, 0x20000                                     // 000000002F84: BE9F00FF 00020000
	s_mov_b32 s35, 0x20000                                     // 000000002F8C: BEA300FF 00020000
	s_mov_b32 s39, 0x20000                                     // 000000002F94: BEA700FF 00020000
	s_mov_b32 s19, 0x20000                                     // 000000002F9C: BE9300FF 00020000
	s_mov_b32 s11, 0x20000                                     // 000000002FA4: BE8B00FF 00020000
	s_and_b32 s21, s21, 0xffff                                 // 000000002FAC: 8615FF15 0000FFFF
	s_and_b32 s25, s25, 0xffff                                 // 000000002FB4: 8619FF19 0000FFFF
	s_and_b32 s13, s13, 0xffff                                 // 000000002FBC: 860DFF0D 0000FFFF
	s_and_b32 s41, s41, 0xffff                                 // 000000002FC4: 8629FF29 0000FFFF
	s_and_b32 s29, s29, 0xffff                                 // 000000002FCC: 861DFF1D 0000FFFF
	s_and_b32 s33, s33, 0xffff                                 // 000000002FD4: 8621FF21 0000FFFF
	s_and_b32 s37, s37, 0xffff                                 // 000000002FDC: 8625FF25 0000FFFF
	s_and_b32 s17, s17, 0xffff                                 // 000000002FE4: 8611FF11 0000FFFF
	s_or_b32 s21, s21, 0x40000                                 // 000000002FEC: 8715FF15 00040000
	s_or_b32 s25, s25, 0x40000                                 // 000000002FF4: 8719FF19 00040000
	s_or_b32 s13, s13, 0x40000                                 // 000000002FFC: 870DFF0D 00040000
	s_or_b32 s41, s41, 0x40000                                 // 000000003004: 8729FF29 00040000
	s_or_b32 s29, s29, 0x40000                                 // 00000000300C: 871DFF1D 00040000
	s_or_b32 s33, s33, 0x40000                                 // 000000003014: 8721FF21 00040000
	s_or_b32 s37, s37, 0x40000                                 // 00000000301C: 8725FF25 00040000
	s_or_b32 s17, s17, 0x40000                                 // 000000003024: 8711FF11 00040000
	v_accvgpr_write_b32 a191, 0                                // 00000000302C: D3D940BF 18000080
	v_mov_b32_e32 v255, 0                                      // 000000003034: 7FFE0280
	s_waitcnt lgkmcnt(0)                                       // 000000003038: BF8CC07F
	s_mul_i32 s60, s3, 32                                      // 00000000303C: 923CA003
	s_cmp_lt_i32 s60, s50                                      // 000000003040: BF04323C
	s_cbranch_scc0 label_1D13                                  // 000000003044: BF841C81
	s_mov_b32 s80, 0                                           // 000000003048: BED00080
	s_mov_b32 s81, s64                                         // 00000000304C: BED10040
	s_mul_i32 s60, s3, 4                                       // 000000003050: 923C8403
	s_add_u32 s46, s60, s46                                    // 000000003054: 802E2E3C
	s_addc_u32 s47, 0, s47                                     // 000000003058: 822F2F80
	s_load_dword s5, s[46:47], 0x0                             // 00000000305C: C0020157 00000000
	s_mul_i32 s60, s3, 32                                      // 000000003064: 923CA003
	s_mul_i32 s60, 4, s60                                      // 000000003068: 923C3C84
	v_and_b32_e32 v44, 15, v0                                  // 00000000306C: 2658008F
	v_lshlrev_b32_e32 v44, 2, v44                              // 000000003070: 24585882
	v_add_u32_e32 v44, s60, v44                                // 000000003074: 6858583C
	v_mov_b32_e32 v45, 0                                       // 000000003078: 7E5A0280
	global_load_dword v6, v44, s[44:45]                        // 00000000307C: DC508000 062C002C
	v_add_u32_e32 v44, 64, v44                                 // 000000003084: 685858C0
	global_load_dword v7, v44, s[44:45]                        // 000000003088: DC508000 072C002C
	s_mul_i32 s60, s3, 32                                      // 000000003090: 923CA003
	s_lshr_b32 s61, s7, 1                                      // 000000003094: 8F3D8107
	s_mul_i32 s61, s61, 8                                      // 000000003098: 923D883D
	s_add_u32 s60, s61, s60                                    // 00000000309C: 803C3C3D
	s_and_b32 s61, s7, 1                                       // 0000000030A0: 863D8107
	s_mul_i32 s61, s61, 2                                      // 0000000030A4: 923D823D
	s_add_u32 s60, s61, s60                                    // 0000000030A8: 803C3C3D
	s_mul_i32 s60, 4, s60                                      // 0000000030AC: 923C3C84
	s_add_u32 s44, s60, s44                                    // 0000000030B0: 802C2C3C
	s_addc_u32 s45, 0, s45                                     // 0000000030B4: 822D2D80
	s_load_dword s82, s[44:45], 0x0                            // 0000000030B8: C0021496 00000000
	s_load_dword s83, s[44:45], 0x4                            // 0000000030C0: C00214D6 00000004
	s_load_dword s84, s[44:45], 0x10                           // 0000000030C8: C0021516 00000010
	s_load_dword s85, s[44:45], 0x14                           // 0000000030D0: C0021556 00000014
	s_load_dword s86, s[44:45], 0x40                           // 0000000030D8: C0021596 00000040
	s_load_dword s87, s[44:45], 0x44                           // 0000000030E0: C00215D6 00000044
	s_load_dword s88, s[44:45], 0x50                           // 0000000030E8: C0021616 00000050
	s_load_dword s89, s[44:45], 0x54                           // 0000000030F0: C0021656 00000054
	s_waitcnt lgkmcnt(0)                                       // 0000000030F8: BF8CC07F
	s_and_b32 s82, s82, 0xffffff                               // 0000000030FC: 8652FF52 00FFFFFF
	s_mul_i32 s62, s82, s68                                    // 000000003104: 923E4452
	s_lshl_b32 s60, 0xff, 0                                    // 000000003108: 8E3C80FF 000000FF
	s_mov_b32 s61, 0                                           // 000000003110: BEBD0080
	s_mov_b64 exec, s[60:61]                                   // 000000003114: BEFE013C
	v_mov_b32_e32 v26, s62                                     // 000000003118: 7E34023E
	s_and_b32 s83, s83, 0xffffff                               // 00000000311C: 8653FF53 00FFFFFF
	s_mul_i32 s62, s83, s68                                    // 000000003124: 923E4453
	s_lshl_b32 s60, 0xff, 8                                    // 000000003128: 8E3C88FF 000000FF
	s_mov_b64 exec, s[60:61]                                   // 000000003130: BEFE013C
	v_mov_b32_e32 v26, s62                                     // 000000003134: 7E34023E
	s_and_b32 s84, s84, 0xffffff                               // 000000003138: 8654FF54 00FFFFFF
	s_mul_i32 s62, s84, s68                                    // 000000003140: 923E4454
	s_lshl_b32 s60, 0xff, 16                                   // 000000003144: 8E3C90FF 000000FF
	s_mov_b64 exec, s[60:61]                                   // 00000000314C: BEFE013C
	v_mov_b32_e32 v26, s62                                     // 000000003150: 7E34023E
	s_and_b32 s85, s85, 0xffffff                               // 000000003154: 8655FF55 00FFFFFF
	s_mul_i32 s62, s85, s68                                    // 00000000315C: 923E4455
	s_lshl_b32 s60, 0xff, 24                                   // 000000003160: 8E3C98FF 000000FF
	s_mov_b64 exec, s[60:61]                                   // 000000003168: BEFE013C
	v_mov_b32_e32 v26, s62                                     // 00000000316C: 7E34023E
	s_and_b32 s86, s86, 0xffffff                               // 000000003170: 8656FF56 00FFFFFF
	s_mul_i32 s62, s86, s68                                    // 000000003178: 923E4456
	s_lshl_b32 s61, 0xff, 0                                    // 00000000317C: 8E3D80FF 000000FF
	s_mov_b32 s60, 0                                           // 000000003184: BEBC0080
	s_mov_b64 exec, s[60:61]                                   // 000000003188: BEFE013C
	v_mov_b32_e32 v26, s62                                     // 00000000318C: 7E34023E
	s_and_b32 s87, s87, 0xffffff                               // 000000003190: 8657FF57 00FFFFFF
	s_mul_i32 s62, s87, s68                                    // 000000003198: 923E4457
	s_lshl_b32 s61, 0xff, 8                                    // 00000000319C: 8E3D88FF 000000FF
	s_mov_b64 exec, s[60:61]                                   // 0000000031A4: BEFE013C
	v_mov_b32_e32 v26, s62                                     // 0000000031A8: 7E34023E
	s_and_b32 s88, s88, 0xffffff                               // 0000000031AC: 8658FF58 00FFFFFF
	s_mul_i32 s62, s88, s68                                    // 0000000031B4: 923E4458
	s_lshl_b32 s61, 0xff, 16                                   // 0000000031B8: 8E3D90FF 000000FF
	s_mov_b64 exec, s[60:61]                                   // 0000000031C0: BEFE013C
	v_mov_b32_e32 v26, s62                                     // 0000000031C4: 7E34023E
	s_and_b32 s89, s89, 0xffffff                               // 0000000031C8: 8659FF59 00FFFFFF
	s_mul_i32 s62, s89, s68                                    // 0000000031D0: 923E4459
	s_lshl_b32 s61, 0xff, 24                                   // 0000000031D4: 8E3D98FF 000000FF
	s_mov_b64 exec, s[60:61]                                   // 0000000031DC: BEFE013C
	v_mov_b32_e32 v26, s62                                     // 0000000031E0: 7E34023E
	s_mov_b32 s60, -1                                          // 0000000031E4: BEBC00C1
	s_mov_b32 s61, -1                                          // 0000000031E8: BEBD00C1
	s_mov_b64 exec, s[60:61]                                   // 0000000031EC: BEFE013C
	v_and_b32_e64 v44, v0, 7                                   // 0000000031F0: D113002C 00010F00
	v_lshlrev_b32_e32 v44, 4, v44                              // 0000000031F8: 24585884
	v_add_u32_e32 v26, v26, v44                                // 0000000031FC: 6834591A
	s_mov_b32 s62, 0x80                                        // 000000003200: BEBE00FF 00000080
	v_add_u32_e64 v27, v26, s62                                // 000000003208: D134001B 00007D1A
	v_lshlrev_b32_e32 v44, 2, v0                               // 000000003210: 24580082
	s_mul_i32 s60, s82, s71                                    // 000000003214: 923C4752
	v_add_u32_e64 v64, v44, s60                                // 000000003218: D1340040 0000792C
	v_mov_b32_e32 v65, 0                                       // 000000003220: 7E820280
	s_mul_i32 s60, s83, s71                                    // 000000003224: 923C4753
	v_add_u32_e64 v66, v44, s60                                // 000000003228: D1340042 0000792C
	v_mov_b32_e32 v67, 0                                       // 000000003230: 7E860280
	s_mul_i32 s60, s84, s71                                    // 000000003234: 923C4754
	v_add_u32_e64 v68, v44, s60                                // 000000003238: D1340044 0000792C
	v_mov_b32_e32 v69, 0                                       // 000000003240: 7E8A0280
	s_mul_i32 s60, s85, s71                                    // 000000003244: 923C4755
	v_add_u32_e64 v70, v44, s60                                // 000000003248: D1340046 0000792C
	v_mov_b32_e32 v71, 0                                       // 000000003250: 7E8E0280
	s_mul_i32 s60, s86, s71                                    // 000000003254: 923C4756
	v_add_u32_e64 v72, v44, s60                                // 000000003258: D1340048 0000792C
	v_mov_b32_e32 v73, 0                                       // 000000003260: 7E920280
	s_mul_i32 s60, s87, s71                                    // 000000003264: 923C4757
	v_add_u32_e64 v74, v44, s60                                // 000000003268: D134004A 0000792C
	v_mov_b32_e32 v75, 0                                       // 000000003270: 7E960280
	s_mul_i32 s60, s88, s71                                    // 000000003274: 923C4758
	v_add_u32_e64 v76, v44, s60                                // 000000003278: D134004C 0000792C
	v_mov_b32_e32 v77, 0                                       // 000000003280: 7E9A0280
	s_mul_i32 s60, s89, s71                                    // 000000003284: 923C4759
	v_add_u32_e64 v78, v44, s60                                // 000000003288: D134004E 0000792C
	v_mov_b32_e32 v79, 0                                       // 000000003290: 7E9E0280
	s_mul_i32 s60, s7, 0x420                                   // 000000003294: 923CFF07 00000420
	s_add_u32 s50, 0, s60                                      // 00000000329C: 80323C80
	s_add_u32 s51, 0x2500, s50                                 // 0000000032A0: 803332FF 00002500
	v_and_b32_e32 v44, 15, v0                                  // 0000000032A8: 2658008F
	v_lshrrev_b32_e32 v45, 3, v44                              // 0000000032AC: 205A5883
	v_mul_lo_u32 v45, 2, v45                                   // 0000000032B0: D285002D 00025A82
	v_and_b32_e32 v44, 3, v0                                   // 0000000032B8: 26580083
	v_lshrrev_b32_e32 v46, 1, v44                              // 0000000032BC: 205C5881
	v_add_u32_e32 v44, v45, v46                                // 0000000032C0: 68585D2D
	v_mul_i32_i24_e32 v1, 0x420, v44                           // 0000000032C4: 0C0258FF 00000420
	v_and_b32_e32 v44, 7, v0                                   // 0000000032CC: 26580087
	v_lshrrev_b32_e32 v45, 2, v44                              // 0000000032D0: 205A5882
	v_mul_i32_i24_e32 v45, 0x100, v45                          // 0000000032D4: 0C5A5AFF 00000100
	v_and_b32_e32 v44, 1, v0                                   // 0000000032DC: 26580081
	v_mul_i32_i24_e32 v46, 0x80, v44                           // 0000000032E0: 0C5C58FF 00000080
	v_add_u32_e32 v1, v45, v1                                  // 0000000032E8: 6802032D
	v_add_u32_e32 v1, v46, v1                                  // 0000000032EC: 6802032E
	v_lshrrev_b32_e32 v44, 4, v0                               // 0000000032F0: 20580084
	v_mul_lo_u32 v44, 16, v44                                  // 0000000032F4: D285002C 00025890
	v_add_u32_e32 v1, v44, v1                                  // 0000000032FC: 6802032C
	s_mul_i32 s60, s2, 0x180                                   // 000000003300: 923CFF02 00000180
	s_mul_i32 s60, s60, s69                                    // 000000003308: 923C453C
	s_mul_i32 s61, s5, s72                                     // 00000000330C: 923D4805
	s_add_u32 s60, s61, s60                                    // 000000003310: 803C3C3D
	s_add_u32 s24, s60, s24                                    // 000000003314: 8018183C
	s_addc_u32 s25, 0, s25                                     // 000000003318: 82191980
	s_mul_i32 s60, s7, 16                                      // 00000000331C: 923C9007
	s_mul_i32 s60, s60, s69                                    // 000000003320: 923C453C
	v_lshlrev_b32_e32 v34, 4, v0                               // 000000003324: 24440084
	v_add_u32_e32 v34, s60, v34                                // 000000003328: 6844443C
	s_mul_i32 s60, 64, s69                                     // 00000000332C: 923C45C0
	v_add_u32_e32 v35, s60, v34                                // 000000003330: 6846443C
	v_add_u32_e32 v36, s60, v35                                // 000000003334: 6848463C
	v_add_u32_e32 v37, s60, v36                                // 000000003338: 684A483C
	v_add_u32_e32 v38, s60, v37                                // 00000000333C: 684C4A3C
	v_add_u32_e32 v39, s60, v38                                // 000000003340: 684E4C3C
	s_mov_b32 s92, s24                                         // 000000003344: BEDC0018
	s_mov_b32 s93, s25                                         // 000000003348: BEDD0019
	s_mov_b32 s94, s26                                         // 00000000334C: BEDE001A
	s_mov_b32 s95, s27                                         // 000000003350: BEDF001B
	s_mul_i32 s60, s69, s65                                    // 000000003354: 923C4145
	s_add_u32 s92, s60, s92                                    // 000000003358: 805C5C3C
	s_addc_u32 s93, 0, s93                                     // 00000000335C: 825D5D80
	s_mul_i32 s60, s2, 0x1800                                  // 000000003360: 923CFF02 00001800
	s_mul_i32 s61, s5, s73                                     // 000000003368: 923D4905
	s_add_u32 s60, s61, s60                                    // 00000000336C: 803C3C3D
	s_add_u32 s12, s60, s12                                    // 000000003370: 800C0C3C
	s_addc_u32 s13, 0, s13                                     // 000000003374: 820D0D80
	s_mul_i32 s60, s7, 16                                      // 000000003378: 923C9007
	s_mul_i32 s60, s60, s70                                    // 00000000337C: 923C463C
	v_lshlrev_b32_e32 v40, 4, v0                               // 000000003380: 24500084
	v_add_u32_e32 v40, s60, v40                                // 000000003384: 6850503C
	s_mul_i32 s60, 64, s70                                     // 000000003388: 923C46C0
	v_add_u32_e32 v41, s60, v40                                // 00000000338C: 6852503C
	v_add_u32_e32 v42, s60, v41                                // 000000003390: 6854523C
	v_add_u32_e32 v43, s60, v42                                // 000000003394: 6856543C
	s_mul_i32 s60, s70, 0x100                                  // 000000003398: 923CFF46 00000100
	s_mov_b32 s78, 0x800                                       // 0000000033A0: BECE00FF 00000800
	s_mul_i32 s61, s78, 2                                      // 0000000033A8: 923D824E
	s_sub_u32 s56, s60, s61                                    // 0000000033AC: 80B83D3C
	s_mul_i32 s60, s3, 32                                      // 0000000033B0: 923CA003
	s_mul_i32 s60, 4, s60                                      // 0000000033B4: 923C3C84
	s_add_u32 s40, s60, s40                                    // 0000000033B8: 8028283C
	s_addc_u32 s41, 0, s41                                     // 0000000033BC: 82292980
	v_and_b32_e32 v44, 15, v0                                  // 0000000033C0: 2658008F
	v_lshlrev_b32_e32 v8, 2, v44                               // 0000000033C4: 24105882
	v_add_u32_e32 v9, 64, v8                                   // 0000000033C8: 681210C0
	s_lshr_b32 s60, s64, 7                                     // 0000000033CC: 8F3C8740
	s_mul_i32 s61, s60, 4                                      // 0000000033D0: 923D843C
	v_and_b32_e64 v10, v0, 3                                   // 0000000033D4: D113000A 00010700
	v_mul_lo_u32 v10, v10, s61                                 // 0000000033DC: D285000A 00007B0A
	v_and_b32_e64 v44, v0, 7                                   // 0000000033E4: D113002C 00010F00
	v_lshrrev_b32_e32 v44, 2, v44                              // 0000000033EC: 20585882
	v_mul_lo_u32 v44, 4, v44                                   // 0000000033F0: D285002C 00025884
	v_add_u32_e32 v10, v10, v44                                // 0000000033F8: 6814590A
	s_lshr_b32 s60, s65, 7                                     // 0000000033FC: 8F3C8741
	s_mul_i32 s60, s60, s61                                    // 000000003400: 923C3D3C
	v_add_u32_e64 v12, v10, s60                                // 000000003404: D134000C 0000790A
	s_mov_b32 s4, 8                                            // 00000000340C: BE840088
	s_mul_i32 s60, s2, 3                                       // 000000003410: 923C8302
	s_mul_i32 s60, s60, s61                                    // 000000003414: 923C3D3C
	s_mul_i32 s61, s5, s74                                     // 000000003418: 923D4A05
	s_add_u32 s61, s61, s60                                    // 00000000341C: 803D3C3D
	s_add_u32 s32, s61, s32                                    // 000000003420: 8020203D
	s_addc_u32 s33, 0, s33                                     // 000000003424: 82212180
	s_lshr_b32 s60, s65, 7                                     // 000000003428: 8F3C8741
	s_mul_i32 s61, s60, 4                                      // 00000000342C: 923D843C
	s_mul_i32 s60, s2, 3                                       // 000000003430: 923C8302
	s_mul_i32 s60, s60, 4                                      // 000000003434: 923C843C
	v_and_b32_e64 v5, v0, 1                                    // 000000003438: D1130005 00010300
	v_mul_lo_u32 v5, v5, s61                                   // 000000003440: D2850005 00007B05
	v_and_b32_e64 v44, v0, 7                                   // 000000003448: D113002C 00010F00
	v_lshrrev_b32_e32 v44, 1, v44                              // 000000003450: 20585881
	v_mul_lo_u32 v44, 4, v44                                   // 000000003454: D285002C 00025884
	v_add_i32 v5, v5, v44                                      // 00000000345C: D29C0005 00025905
	v_add_i32 v5, v5, s60                                      // 000000003464: D29C0005 00007905
	s_mul_i32 s60, s5, s75                                     // 00000000346C: 923C4B05
	s_add_u32 s16, s60, s16                                    // 000000003470: 8010103C
	s_addc_u32 s17, 0, s17                                     // 000000003474: 82111180
	s_mov_b32 s57, 0x100                                       // 000000003478: BEB900FF 00000100
	s_mov_b32 s58, 0x1000                                      // 000000003480: BEBA00FF 00001000
	s_mul_i32 s79, 2, s61                                      // 000000003488: 924F3D82
	s_mov_b32 s59, 0                                           // 00000000348C: BEBB0080
	s_mov_b32 s90, s58                                         // 000000003490: BEDA003A
	s_mov_b32 s52, 0x7060302                                   // 000000003494: BEB400FF 07060302
	s_mov_b32 s53, 0x400                                       // 00000000349C: BEB500FF 00000400
	s_mov_b32 s54, 0x40100                                     // 0000000034A4: BEB600FF 00040100
	s_mov_b32 s55, 0x4020100                                   // 0000000034AC: BEB700FF 04020100
	s_mov_b32 s6, 0x3fb8aa3b                                   // 0000000034B4: BE8600FF 3FB8AA3B
	s_mov_b32 s77, 0xbd92220c                                  // 0000000034BC: BECD00FF BD92220C
	s_mov_b32 m0, s50                                          // 0000000034C4: BEFC0032
	v_mov_b32_e32 v96, 0xbfcc4231                              // 0000000034C8: 7EC002FF BFCC4231
	s_waitcnt vmcnt(0) expcnt(0) lgkmcnt(0)                    // 0000000034D0: BF8C0000
	v_and_b32_e32 v6, 0xffffff, v6                             // 0000000034D4: 260C0CFF 00FFFFFF
	v_and_b32_e32 v7, 0xffffff, v7                             // 0000000034DC: 260E0EFF 00FFFFFF
	v_lshlrev_b32_e32 v6, 2, v6                                // 0000000034E4: 240C0C82
	v_lshlrev_b32_e32 v7, 2, v7                                // 0000000034E8: 240E0E82
	s_lshr_b32 s60, s7, 1                                      // 0000000034EC: 8F3C8107
	s_lshl_b32 s3, s66, 2                                      // 0000000034F0: 8E038242
	s_mul_i32 s60, s60, s3                                     // 0000000034F4: 923C033C
	s_add_u32 s28, s28, s60                                    // 0000000034F8: 801C3C1C
	s_addc_u32 s29, 0, s29                                     // 0000000034FC: 821D1D80
	s_mov_b32 s30, s3                                          // 000000003500: BE9E0003
	s_lshl_b32 s3, s3, 1                                       // 000000003504: 8E038103
	s_and_b32 s61, s7, 1                                       // 000000003508: 863D8107
	s_cmp_eq_u32 s61, 1                                        // 00000000350C: BF06813D
	s_cselect_b32 s60, 0, 1                                    // 000000003510: 853C8180
	v_mul_lo_u32 v44, v6, s60                                  // 000000003514: D285002C 00007906
	v_mul_lo_u32 v45, v7, s61                                  // 00000000351C: D285002D 00007B07
	v_add_u32_e32 v44, v44, v45                                // 000000003524: 68585B2C
	v_mov_b32_e32 v6, v44                                      // 000000003528: 7E0C032C
	s_mul_i32 s60, s7, 0x100                                   // 00000000352C: 923CFF07 00000100
	s_sub_u32 s61, 4, s7                                       // 000000003534: 80BD0784
	s_mul_i32 s61, s61, 0x420                                  // 000000003538: 923DFF3D 00000420
	s_add_u32 s76, s60, s61                                    // 000000003540: 804C3D3C
	v_lshlrev_b32_e32 v2, 2, v0                                // 000000003544: 24040082
	buffer_load_dword v22, v10, s[32:35], 0 offen              // 000000003548: E0501000 8008160A
	buffer_load_dword v24, v8, s[40:43], 0 offen               // 000000003550: E0501000 800A1808
	buffer_load_dword v25, v9, s[40:43], 0 offen               // 000000003558: E0501000 800A1909
	buffer_load_dwordx4 v26, s[20:23], 0 offen lds             // 000000003560: E05D1000 8005001A
	s_add_u32 m0, 0x1080, s50                                  // 000000003568: 807C32FF 00001080
	buffer_load_dwordx4 v27, s[20:23], 0 offen lds             // 000000003570: E05D1000 8005001B
	s_add_u32 m0, m0, s76                                      // 000000003578: 807C4C7C
	buffer_load_dword v6, s[28:31], 0 offen lds                // 00000000357C: E0511000 80070006
	s_add_u32 m0, 0, s51                                       // 000000003584: 807C3380
	s_add_u32 s20, s57, s20                                    // 000000003588: 80141439
	s_addc_u32 s21, 0, s21                                     // 00000000358C: 82151580
	s_add_u32 s28, s3, s28                                     // 000000003590: 801C1C03
	s_addc_u32 s29, 0, s29                                     // 000000003594: 821D1D80
	buffer_load_dwordx4 a[0:3], v34, s[24:27], 0 offen         // 000000003598: E05C1000 80860022
	buffer_load_dwordx4 a[4:7], v34, s[24:27], 0 offen offset:1024// 0000000035A0: E05C1400 80860422
	buffer_load_dwordx4 a[8:11], v35, s[24:27], 0 offen        // 0000000035A8: E05C1000 80860823
	buffer_load_dwordx4 a[12:15], v35, s[24:27], 0 offen offset:1024// 0000000035B0: E05C1400 80860C23
	buffer_load_dwordx4 a[16:19], v36, s[24:27], 0 offen       // 0000000035B8: E05C1000 80861024
	buffer_load_dwordx4 a[20:23], v36, s[24:27], 0 offen offset:1024// 0000000035C0: E05C1400 80861424
	buffer_load_dwordx4 a[24:27], v37, s[24:27], 0 offen       // 0000000035C8: E05C1000 80861825
	buffer_load_dwordx4 a[28:31], v37, s[24:27], 0 offen offset:1024// 0000000035D0: E05C1400 80861C25
	buffer_load_dwordx4 a[32:35], v38, s[24:27], 0 offen       // 0000000035D8: E05C1000 80862026
	buffer_load_dwordx4 a[36:39], v38, s[24:27], 0 offen offset:1024// 0000000035E0: E05C1400 80862426
	buffer_load_dwordx4 a[40:43], v39, s[24:27], 0 offen       // 0000000035E8: E05C1000 80862827
	buffer_load_dwordx4 a[44:47], v39, s[24:27], 0 offen offset:1024// 0000000035F0: E05C1400 80862C27
	buffer_load_dwordx4 a[48:51], v34, s[24:27], 0 offen offset:2048// 0000000035F8: E05C1800 80863022
	buffer_load_dwordx4 a[52:55], v34, s[24:27], 0 offen offset:3072// 000000003600: E05C1C00 80863422
	buffer_load_dwordx4 a[56:59], v35, s[24:27], 0 offen offset:2048// 000000003608: E05C1800 80863823
	buffer_load_dwordx4 a[60:63], v35, s[24:27], 0 offen offset:3072// 000000003610: E05C1C00 80863C23
	buffer_load_dwordx4 a[64:67], v36, s[24:27], 0 offen offset:2048// 000000003618: E05C1800 80864024
	buffer_load_dwordx4 a[68:71], v36, s[24:27], 0 offen offset:3072// 000000003620: E05C1C00 80864424
	buffer_load_dwordx4 a[72:75], v37, s[24:27], 0 offen offset:2048// 000000003628: E05C1800 80864825
	buffer_load_dwordx4 a[76:79], v37, s[24:27], 0 offen offset:3072// 000000003630: E05C1C00 80864C25
	buffer_load_dwordx4 a[80:83], v38, s[24:27], 0 offen offset:2048// 000000003638: E05C1800 80865026
	buffer_load_dwordx4 a[84:87], v38, s[24:27], 0 offen offset:3072// 000000003640: E05C1C00 80865426
	buffer_load_dwordx4 a[88:91], v39, s[24:27], 0 offen offset:2048// 000000003648: E05C1800 80865827
	buffer_load_dwordx4 a[92:95], v39, s[24:27], 0 offen offset:3072// 000000003650: E05C1C00 80865C27
	s_add_u32 s24, s58, s24                                    // 000000003658: 8018183A
	s_addc_u32 s25, 0, s25                                     // 00000000365C: 82191980
	v_mov_b32_e32 v144, 0                                      // 000000003660: 7F200280
	v_mov_b32_e32 v48, 0                                       // 000000003664: 7E600280
	v_mov_b32_e32 v145, 0                                      // 000000003668: 7F220280
	v_mov_b32_e32 v49, 0                                       // 00000000366C: 7E620280
	v_mov_b32_e32 v146, 0                                      // 000000003670: 7F240280
	v_mov_b32_e32 v50, 0                                       // 000000003674: 7E640280
	v_mov_b32_e32 v147, 0                                      // 000000003678: 7F260280
	v_mov_b32_e32 v51, 0                                       // 00000000367C: 7E660280
	v_mov_b32_e32 v148, 0                                      // 000000003680: 7F280280
	v_mov_b32_e32 v52, 0                                       // 000000003684: 7E680280
	v_mov_b32_e32 v149, 0                                      // 000000003688: 7F2A0280
	v_mov_b32_e32 v53, 0                                       // 00000000368C: 7E6A0280
	v_mov_b32_e32 v150, 0                                      // 000000003690: 7F2C0280
	v_mov_b32_e32 v54, 0                                       // 000000003694: 7E6C0280
	v_mov_b32_e32 v151, 0                                      // 000000003698: 7F2E0280
	v_mov_b32_e32 v55, 0                                       // 00000000369C: 7E6E0280
	v_mov_b32_e32 v152, 0                                      // 0000000036A0: 7F300280
	v_mov_b32_e32 v56, 0                                       // 0000000036A4: 7E700280
	v_mov_b32_e32 v153, 0                                      // 0000000036A8: 7F320280
	v_mov_b32_e32 v57, 0                                       // 0000000036AC: 7E720280
	v_mov_b32_e32 v154, 0                                      // 0000000036B0: 7F340280
	v_mov_b32_e32 v58, 0                                       // 0000000036B4: 7E740280
	v_mov_b32_e32 v155, 0                                      // 0000000036B8: 7F360280
	v_mov_b32_e32 v59, 0                                       // 0000000036BC: 7E760280
	v_mov_b32_e32 v156, 0                                      // 0000000036C0: 7F380280
	v_mov_b32_e32 v60, 0                                       // 0000000036C4: 7E780280
	v_mov_b32_e32 v157, 0                                      // 0000000036C8: 7F3A0280
	v_mov_b32_e32 v61, 0                                       // 0000000036CC: 7E7A0280
	v_mov_b32_e32 v158, 0                                      // 0000000036D0: 7F3C0280
	v_mov_b32_e32 v62, 0                                       // 0000000036D4: 7E7C0280
	v_mov_b32_e32 v159, 0                                      // 0000000036D8: 7F3E0280
	v_mov_b32_e32 v63, 0                                       // 0000000036DC: 7E7E0280
	v_mov_b32_e32 v160, 0                                      // 0000000036E0: 7F400280
	v_mov_b32_e32 v64, 0                                       // 0000000036E4: 7E800280
	v_mov_b32_e32 v161, 0                                      // 0000000036E8: 7F420280
	v_mov_b32_e32 v65, 0                                       // 0000000036EC: 7E820280
	v_mov_b32_e32 v162, 0                                      // 0000000036F0: 7F440280
	v_mov_b32_e32 v66, 0                                       // 0000000036F4: 7E840280
	v_mov_b32_e32 v163, 0                                      // 0000000036F8: 7F460280
	v_mov_b32_e32 v67, 0                                       // 0000000036FC: 7E860280
	v_mov_b32_e32 v164, 0                                      // 000000003700: 7F480280
	v_mov_b32_e32 v68, 0                                       // 000000003704: 7E880280
	v_mov_b32_e32 v165, 0                                      // 000000003708: 7F4A0280
	v_mov_b32_e32 v69, 0                                       // 00000000370C: 7E8A0280
	v_mov_b32_e32 v166, 0                                      // 000000003710: 7F4C0280
	v_mov_b32_e32 v70, 0                                       // 000000003714: 7E8C0280
	v_mov_b32_e32 v167, 0                                      // 000000003718: 7F4E0280
	v_mov_b32_e32 v71, 0                                       // 00000000371C: 7E8E0280
	v_mov_b32_e32 v168, 0                                      // 000000003720: 7F500280
	v_mov_b32_e32 v72, 0                                       // 000000003724: 7E900280
	v_mov_b32_e32 v169, 0                                      // 000000003728: 7F520280
	v_mov_b32_e32 v73, 0                                       // 00000000372C: 7E920280
	v_mov_b32_e32 v170, 0                                      // 000000003730: 7F540280
	v_mov_b32_e32 v74, 0                                       // 000000003734: 7E940280
	v_mov_b32_e32 v171, 0                                      // 000000003738: 7F560280
	v_mov_b32_e32 v75, 0                                       // 00000000373C: 7E960280
	v_mov_b32_e32 v172, 0                                      // 000000003740: 7F580280
	v_mov_b32_e32 v76, 0                                       // 000000003744: 7E980280
	v_mov_b32_e32 v173, 0                                      // 000000003748: 7F5A0280
	v_mov_b32_e32 v77, 0                                       // 00000000374C: 7E9A0280
	v_mov_b32_e32 v174, 0                                      // 000000003750: 7F5C0280
	v_mov_b32_e32 v78, 0                                       // 000000003754: 7E9C0280
	v_mov_b32_e32 v175, 0                                      // 000000003758: 7F5E0280
	v_mov_b32_e32 v79, 0                                       // 00000000375C: 7E9E0280
	v_mov_b32_e32 v176, 0                                      // 000000003760: 7F600280
	v_mov_b32_e32 v80, 0                                       // 000000003764: 7EA00280
	v_mov_b32_e32 v177, 0                                      // 000000003768: 7F620280
	v_mov_b32_e32 v81, 0                                       // 00000000376C: 7EA20280
	v_mov_b32_e32 v178, 0                                      // 000000003770: 7F640280
	v_mov_b32_e32 v82, 0                                       // 000000003774: 7EA40280
	v_mov_b32_e32 v179, 0                                      // 000000003778: 7F660280
	v_mov_b32_e32 v83, 0                                       // 00000000377C: 7EA60280
	v_mov_b32_e32 v180, 0                                      // 000000003780: 7F680280
	v_mov_b32_e32 v84, 0                                       // 000000003784: 7EA80280
	v_mov_b32_e32 v181, 0                                      // 000000003788: 7F6A0280
	v_mov_b32_e32 v85, 0                                       // 00000000378C: 7EAA0280
	v_mov_b32_e32 v182, 0                                      // 000000003790: 7F6C0280
	v_mov_b32_e32 v86, 0                                       // 000000003794: 7EAC0280
	v_mov_b32_e32 v183, 0                                      // 000000003798: 7F6E0280
	v_mov_b32_e32 v87, 0                                       // 00000000379C: 7EAE0280
	v_mov_b32_e32 v184, 0                                      // 0000000037A0: 7F700280
	v_mov_b32_e32 v88, 0                                       // 0000000037A4: 7EB00280
	v_mov_b32_e32 v185, 0                                      // 0000000037A8: 7F720280
	v_mov_b32_e32 v89, 0                                       // 0000000037AC: 7EB20280
	v_mov_b32_e32 v186, 0                                      // 0000000037B0: 7F740280
	v_mov_b32_e32 v90, 0                                       // 0000000037B4: 7EB40280
	v_mov_b32_e32 v187, 0                                      // 0000000037B8: 7F760280
	v_mov_b32_e32 v91, 0                                       // 0000000037BC: 7EB60280
	v_mov_b32_e32 v188, 0                                      // 0000000037C0: 7F780280
	v_mov_b32_e32 v92, 0                                       // 0000000037C4: 7EB80280
	v_mov_b32_e32 v189, 0                                      // 0000000037C8: 7F7A0280
	v_mov_b32_e32 v93, 0                                       // 0000000037CC: 7EBA0280
	v_mov_b32_e32 v190, 0                                      // 0000000037D0: 7F7C0280
	v_mov_b32_e32 v94, 0                                       // 0000000037D4: 7EBC0280
	v_mov_b32_e32 v191, 0                                      // 0000000037D8: 7F7E0280
	v_mov_b32_e32 v95, 0                                       // 0000000037DC: 7EBE0280
	v_mov_b32_e32 v192, 0                                      // 0000000037E0: 7F800280
	v_mov_b32_e32 v96, 0                                       // 0000000037E4: 7EC00280
	v_mov_b32_e32 v193, 0                                      // 0000000037E8: 7F820280
	v_mov_b32_e32 v97, 0                                       // 0000000037EC: 7EC20280
	v_mov_b32_e32 v194, 0                                      // 0000000037F0: 7F840280
	v_mov_b32_e32 v98, 0                                       // 0000000037F4: 7EC40280
	v_mov_b32_e32 v195, 0                                      // 0000000037F8: 7F860280
	v_mov_b32_e32 v99, 0                                       // 0000000037FC: 7EC60280
	v_mov_b32_e32 v196, 0                                      // 000000003800: 7F880280
	v_mov_b32_e32 v100, 0                                      // 000000003804: 7EC80280
	v_mov_b32_e32 v197, 0                                      // 000000003808: 7F8A0280
	v_mov_b32_e32 v101, 0                                      // 00000000380C: 7ECA0280
	v_mov_b32_e32 v198, 0                                      // 000000003810: 7F8C0280
	v_mov_b32_e32 v102, 0                                      // 000000003814: 7ECC0280
	v_mov_b32_e32 v199, 0                                      // 000000003818: 7F8E0280
	v_mov_b32_e32 v103, 0                                      // 00000000381C: 7ECE0280
	v_mov_b32_e32 v200, 0                                      // 000000003820: 7F900280
	v_mov_b32_e32 v104, 0                                      // 000000003824: 7ED00280
	v_mov_b32_e32 v201, 0                                      // 000000003828: 7F920280
	v_mov_b32_e32 v105, 0                                      // 00000000382C: 7ED20280
	v_mov_b32_e32 v202, 0                                      // 000000003830: 7F940280
	v_mov_b32_e32 v106, 0                                      // 000000003834: 7ED40280
	v_mov_b32_e32 v203, 0                                      // 000000003838: 7F960280
	v_mov_b32_e32 v107, 0                                      // 00000000383C: 7ED60280
	v_mov_b32_e32 v204, 0                                      // 000000003840: 7F980280
	v_mov_b32_e32 v108, 0                                      // 000000003844: 7ED80280
	v_mov_b32_e32 v205, 0                                      // 000000003848: 7F9A0280
	v_mov_b32_e32 v109, 0                                      // 00000000384C: 7EDA0280
	v_mov_b32_e32 v206, 0                                      // 000000003850: 7F9C0280
	v_mov_b32_e32 v110, 0                                      // 000000003854: 7EDC0280
	v_mov_b32_e32 v207, 0                                      // 000000003858: 7F9E0280
	v_mov_b32_e32 v111, 0                                      // 00000000385C: 7EDE0280
	v_mov_b32_e32 v208, 0                                      // 000000003860: 7FA00280
	v_mov_b32_e32 v112, 0                                      // 000000003864: 7EE00280
	v_mov_b32_e32 v209, 0                                      // 000000003868: 7FA20280
	v_mov_b32_e32 v113, 0                                      // 00000000386C: 7EE20280
	v_mov_b32_e32 v210, 0                                      // 000000003870: 7FA40280
	v_mov_b32_e32 v114, 0                                      // 000000003874: 7EE40280
	v_mov_b32_e32 v211, 0                                      // 000000003878: 7FA60280
	v_mov_b32_e32 v115, 0                                      // 00000000387C: 7EE60280
	v_mov_b32_e32 v212, 0                                      // 000000003880: 7FA80280
	v_mov_b32_e32 v116, 0                                      // 000000003884: 7EE80280
	v_mov_b32_e32 v213, 0                                      // 000000003888: 7FAA0280
	v_mov_b32_e32 v117, 0                                      // 00000000388C: 7EEA0280
	v_mov_b32_e32 v214, 0                                      // 000000003890: 7FAC0280
	v_mov_b32_e32 v118, 0                                      // 000000003894: 7EEC0280
	v_mov_b32_e32 v215, 0                                      // 000000003898: 7FAE0280
	v_mov_b32_e32 v119, 0                                      // 00000000389C: 7EEE0280
	v_mov_b32_e32 v216, 0                                      // 0000000038A0: 7FB00280
	v_mov_b32_e32 v120, 0                                      // 0000000038A4: 7EF00280
	v_mov_b32_e32 v217, 0                                      // 0000000038A8: 7FB20280
	v_mov_b32_e32 v121, 0                                      // 0000000038AC: 7EF20280
	v_mov_b32_e32 v218, 0                                      // 0000000038B0: 7FB40280
	v_mov_b32_e32 v122, 0                                      // 0000000038B4: 7EF40280
	v_mov_b32_e32 v219, 0                                      // 0000000038B8: 7FB60280
	v_mov_b32_e32 v123, 0                                      // 0000000038BC: 7EF60280
	v_mov_b32_e32 v220, 0                                      // 0000000038C0: 7FB80280
	v_mov_b32_e32 v124, 0                                      // 0000000038C4: 7EF80280
	v_mov_b32_e32 v221, 0                                      // 0000000038C8: 7FBA0280
	v_mov_b32_e32 v125, 0                                      // 0000000038CC: 7EFA0280
	v_mov_b32_e32 v222, 0                                      // 0000000038D0: 7FBC0280
	v_mov_b32_e32 v126, 0                                      // 0000000038D4: 7EFC0280
	v_mov_b32_e32 v223, 0                                      // 0000000038D8: 7FBE0280
	v_mov_b32_e32 v127, 0                                      // 0000000038DC: 7EFE0280
	v_mov_b32_e32 v224, 0                                      // 0000000038E0: 7FC00280
	v_mov_b32_e32 v128, 0                                      // 0000000038E4: 7F000280
	v_mov_b32_e32 v225, 0                                      // 0000000038E8: 7FC20280
	v_mov_b32_e32 v129, 0                                      // 0000000038EC: 7F020280
	v_mov_b32_e32 v226, 0                                      // 0000000038F0: 7FC40280
	v_mov_b32_e32 v130, 0                                      // 0000000038F4: 7F040280
	v_mov_b32_e32 v227, 0                                      // 0000000038F8: 7FC60280
	v_mov_b32_e32 v131, 0                                      // 0000000038FC: 7F060280
	v_mov_b32_e32 v228, 0                                      // 000000003900: 7FC80280
	v_mov_b32_e32 v132, 0                                      // 000000003904: 7F080280
	v_mov_b32_e32 v229, 0                                      // 000000003908: 7FCA0280
	v_mov_b32_e32 v133, 0                                      // 00000000390C: 7F0A0280
	v_mov_b32_e32 v230, 0                                      // 000000003910: 7FCC0280
	v_mov_b32_e32 v134, 0                                      // 000000003914: 7F0C0280
	v_mov_b32_e32 v231, 0                                      // 000000003918: 7FCE0280
	v_mov_b32_e32 v135, 0                                      // 00000000391C: 7F0E0280
	v_mov_b32_e32 v232, 0                                      // 000000003920: 7FD00280
	v_mov_b32_e32 v136, 0                                      // 000000003924: 7F100280
	v_mov_b32_e32 v233, 0                                      // 000000003928: 7FD20280
	v_mov_b32_e32 v137, 0                                      // 00000000392C: 7F120280
	v_mov_b32_e32 v234, 0                                      // 000000003930: 7FD40280
	v_mov_b32_e32 v138, 0                                      // 000000003934: 7F140280
	v_mov_b32_e32 v235, 0                                      // 000000003938: 7FD60280
	v_mov_b32_e32 v139, 0                                      // 00000000393C: 7F160280
	v_mov_b32_e32 v236, 0                                      // 000000003940: 7FD80280
	v_mov_b32_e32 v140, 0                                      // 000000003944: 7F180280
	v_mov_b32_e32 v237, 0                                      // 000000003948: 7FDA0280
	v_mov_b32_e32 v141, 0                                      // 00000000394C: 7F1A0280
	v_mov_b32_e32 v238, 0                                      // 000000003950: 7FDC0280
	v_mov_b32_e32 v142, 0                                      // 000000003954: 7F1C0280
	v_mov_b32_e32 v239, 0                                      // 000000003958: 7FDE0280
	v_mov_b32_e32 v143, 0                                      // 00000000395C: 7F1E0280
	v_lshrrev_b32_e32 v44, 4, v0                               // 000000003960: 20580084
	v_mul_lo_u32 v3, 34, v44                                   // 000000003964: D2850003 000258A2
	v_and_b32_e32 v44, 15, v0                                  // 00000000396C: 2658008F
	v_mul_lo_u32 v45, 2, v44                                   // 000000003970: D285002D 00025882
	v_add_u32_e32 v3, v45, v3                                  // 000000003978: 6806072D
	s_mul_i32 s60, s7, 0x88                                    // 00000000397C: 923CFF07 00000088
	v_add_u32_e32 v3, s60, v3                                  // 000000003984: 6806063C
	v_lshlrev_b32_e32 v3, 2, v3                                // 000000003988: 24060682
	v_lshrrev_b32_e32 v44, 1, v0                               // 00000000398C: 20580081
	v_mul_lo_u32 v4, 34, v44                                   // 000000003990: D2850004 000258A2
	v_and_b32_e32 v45, 1, v0                                   // 000000003998: 265A0081
	v_add_u32_e32 v4, v45, v4                                  // 00000000399C: 6808092D
	s_mov_b32 s60, 0                                           // 0000000039A0: BEBC0080
	s_lshr_b32 s61, s7, 1                                      // 0000000039A4: 8F3D8107
	s_mul_i32 s61, s61, 8                                      // 0000000039A8: 923D883D
	s_add_u32 s60, s61, s60                                    // 0000000039AC: 803C3C3D
	s_and_b32 s61, s7, 1                                       // 0000000039B0: 863D8107
	s_mul_i32 s61, s61, 2                                      // 0000000039B4: 923D823D
	s_add_u32 s60, s61, s60                                    // 0000000039B8: 803C3C3D
	s_mul_i32 s60, 2, s60                                      // 0000000039BC: 923C3C82
	v_add_u32_e32 v4, s60, v4                                  // 0000000039C0: 6808083C
	v_lshlrev_b32_e32 v4, 2, v4                                // 0000000039C4: 24080882
	s_waitcnt vmcnt(24)                                        // 0000000039C8: BF8C4F78
	s_barrier                                                  // 0000000039CC: BF8A0000
	ds_read_b128 v[192:195], v1                                // 0000000039D0: D9FE0000 C0000001
	ds_read_b128 v[196:199], v1 offset:64                      // 0000000039D8: D9FE0040 C4000001
	ds_read_b128 v[200:203], v1 offset:4224                    // 0000000039E0: D9FE1080 C8000001
	ds_read_b128 v[204:207], v1 offset:4288                    // 0000000039E8: D9FE10C0 CC000001
	ds_read_b128 v[208:211], v1 offset:512                     // 0000000039F0: D9FE0200 D0000001
	ds_read_b128 v[212:215], v1 offset:576                     // 0000000039F8: D9FE0240 D4000001
	ds_read_b128 v[216:219], v1 offset:4736                    // 000000003A00: D9FE1280 D8000001
	ds_read_b128 v[220:223], v1 offset:4800                    // 000000003A08: D9FE12C0 DC000001
	ds_read_b32 v14, v2 offset:8448                            // 000000003A10: D86C2100 0E000002
	ds_read_b32 v15, v2 offset:8704                            // 000000003A18: D86C2200 0F000002
	ds_read_b32 v16, v2 offset:8960                            // 000000003A20: D86C2300 10000002
	ds_read_b32 v17, v2 offset:9216                            // 000000003A28: D86C2400 11000002
	s_cmp_lt_i32 s7, 2                                         // 000000003A30: BF048207
	s_cbranch_scc0 label_0F69                                  // 000000003A34: BF840C5B

0000000000003a38 <label_030E>:
	s_waitcnt vmcnt(20) lgkmcnt(0)                             // 000000003A38: BF8C4074
	s_barrier                                                  // 000000003A3C: BF8A0000
	v_mfma_f32_16x16x128_f8f6f4 v[96:99], a[0:7], v[192:199], 0// 000000003A40: D3AD0060 0A038100
	v_mfma_f32_16x16x128_f8f6f4 v[100:103], a[0:7], v[208:215], 0// 000000003A48: D3AD0064 0A03A100
	buffer_load_dwordx4 a[96:99], v34, s[92:95], 0 offen       // 000000003A50: E05C1000 80976022
	buffer_load_dwordx4 a[100:103], v34, s[92:95], 0 offen offset:1024// 000000003A58: E05C1400 80976422
	buffer_load_dwordx4 v26, s[20:23], 0 offen lds             // 000000003A60: E05D1000 8005001A
	s_add_u32 m0, 0x1080, s51                                  // 000000003A68: 807C33FF 00001080
	buffer_load_dwordx4 v27, s[20:23], 0 offen lds             // 000000003A70: E05D1000 8005001B
	s_add_u32 m0, m0, s76                                      // 000000003A78: 807C4C7C
	v_mfma_f32_16x16x128_f8f6f4 v[104:107], a[8:15], v[192:199], 0// 000000003A7C: D3AD0068 0A038108
	v_mfma_f32_16x16x128_f8f6f4 v[108:111], a[8:15], v[208:215], 0// 000000003A84: D3AD006C 0A03A108
	buffer_load_dwordx4 a[104:107], v35, s[92:95], 0 offen     // 000000003A8C: E05C1000 80976823
	buffer_load_dwordx4 a[108:111], v35, s[92:95], 0 offen offset:1024// 000000003A94: E05C1400 80976C23
	buffer_load_dword v6, s[28:31], 0 offen lds                // 000000003A9C: E0511000 80070006
	s_add_u32 m0, 0, s50                                       // 000000003AA4: 807C3280
	buffer_load_dword v23, v12, s[32:35], 0 offen              // 000000003AA8: E0501000 8008170C
	s_waitcnt vmcnt(24)                                        // 000000003AB0: BF8C4F78
	v_mfma_f32_16x16x128_f8f6f4 v[112:115], a[16:23], v[192:199], 0// 000000003AB4: D3AD0070 0A038110
	v_mfma_f32_16x16x128_f8f6f4 v[116:119], a[16:23], v[208:215], 0// 000000003ABC: D3AD0074 0A03A110
	buffer_load_dwordx4 a[112:115], v36, s[92:95], 0 offen     // 000000003AC4: E05C1000 80977024
	buffer_load_dwordx4 a[116:119], v36, s[92:95], 0 offen offset:1024// 000000003ACC: E05C1400 80977424
	v_mfma_f32_16x16x128_f8f6f4 v[120:123], a[24:31], v[192:199], 0// 000000003AD4: D3AD0078 0A038118
	v_mfma_f32_16x16x128_f8f6f4 v[124:127], a[24:31], v[208:215], 0// 000000003ADC: D3AD007C 0A03A118
	buffer_load_dwordx4 a[120:123], v37, s[92:95], 0 offen     // 000000003AE4: E05C1000 80977825
	buffer_load_dwordx4 a[124:127], v37, s[92:95], 0 offen offset:1024// 000000003AEC: E05C1400 80977C25
	s_waitcnt vmcnt(24)                                        // 000000003AF4: BF8C4F78
	v_mfma_f32_16x16x128_f8f6f4 v[128:131], a[32:39], v[192:199], 0// 000000003AF8: D3AD0080 0A038120
	v_mfma_f32_16x16x128_f8f6f4 v[132:135], a[32:39], v[208:215], 0// 000000003B00: D3AD0084 0A03A120
	buffer_load_dwordx4 a[128:131], v38, s[92:95], 0 offen     // 000000003B08: E05C1000 80978026
	buffer_load_dwordx4 a[132:135], v38, s[92:95], 0 offen offset:1024// 000000003B10: E05C1400 80978426
	v_mfma_f32_16x16x128_f8f6f4 v[136:139], a[40:47], v[192:199], 0// 000000003B18: D3AD0088 0A038128
	v_mfma_f32_16x16x128_f8f6f4 v[140:143], a[40:47], v[208:215], 0// 000000003B20: D3AD008C 0A03A128
	buffer_load_dwordx4 a[136:139], v39, s[92:95], 0 offen     // 000000003B28: E05C1000 80978827
	buffer_load_dwordx4 a[140:143], v39, s[92:95], 0 offen offset:1024// 000000003B30: E05C1400 80978C27
	v_mul_f32_dpp v44, v22, v14 row_newbcast:0 row_mask:0xf bank_mask:0xf// 000000003B38: 0A581CFA FF015016
	v_mov_b32_e32 v45, v44                                     // 000000003B40: 7E5A032C
	v_pk_fma_f32 v[144:145], v[96:97], v[44:45], v[144:145]    // 000000003B44: D3B04090 1E425960
	v_pk_fma_f32 v[146:147], v[98:99], v[44:45], v[146:147]    // 000000003B4C: D3B04092 1E4A5962
	v_pk_fma_f32 v[152:153], v[104:105], v[44:45], v[152:153]  // 000000003B54: D3B04098 1E625968
	v_pk_fma_f32 v[154:155], v[106:107], v[44:45], v[154:155]  // 000000003B5C: D3B0409A 1E6A596A
	v_mul_f32_dpp v44, v22, v14 row_newbcast:1 row_mask:0xf bank_mask:0xf// 000000003B64: 0A581CFA FF015116
	v_mov_b32_e32 v45, v44                                     // 000000003B6C: 7E5A032C
	v_pk_fma_f32 v[160:161], v[112:113], v[44:45], v[160:161]  // 000000003B70: D3B040A0 1E825970
	v_pk_fma_f32 v[162:163], v[114:115], v[44:45], v[162:163]  // 000000003B78: D3B040A2 1E8A5972
	v_pk_fma_f32 v[168:169], v[120:121], v[44:45], v[168:169]  // 000000003B80: D3B040A8 1EA25978
	v_pk_fma_f32 v[170:171], v[122:123], v[44:45], v[170:171]  // 000000003B88: D3B040AA 1EAA597A
	v_mul_f32_dpp v44, v22, v14 row_newbcast:2 row_mask:0xf bank_mask:0xf// 000000003B90: 0A581CFA FF015216
	v_mov_b32_e32 v45, v44                                     // 000000003B98: 7E5A032C
	v_pk_fma_f32 v[176:177], v[128:129], v[44:45], v[176:177]  // 000000003B9C: D3B040B0 1EC25980
	v_pk_fma_f32 v[178:179], v[130:131], v[44:45], v[178:179]  // 000000003BA4: D3B040B2 1ECA5982
	v_pk_fma_f32 v[184:185], v[136:137], v[44:45], v[184:185]  // 000000003BAC: D3B040B8 1EE25988
	v_pk_fma_f32 v[186:187], v[138:139], v[44:45], v[186:187]  // 000000003BB4: D3B040BA 1EEA598A
	v_mul_f32_dpp v44, v22, v15 row_newbcast:0 row_mask:0xf bank_mask:0xf// 000000003BBC: 0A581EFA FF015016
	v_mov_b32_e32 v45, v44                                     // 000000003BC4: 7E5A032C
	v_pk_fma_f32 v[148:149], v[100:101], v[44:45], v[148:149]  // 000000003BC8: D3B04094 1E525964
	v_pk_fma_f32 v[150:151], v[102:103], v[44:45], v[150:151]  // 000000003BD0: D3B04096 1E5A5966
	v_pk_fma_f32 v[156:157], v[108:109], v[44:45], v[156:157]  // 000000003BD8: D3B0409C 1E72596C
	v_pk_fma_f32 v[158:159], v[110:111], v[44:45], v[158:159]  // 000000003BE0: D3B0409E 1E7A596E
	v_mul_f32_dpp v44, v22, v15 row_newbcast:1 row_mask:0xf bank_mask:0xf// 000000003BE8: 0A581EFA FF015116
	v_mov_b32_e32 v45, v44                                     // 000000003BF0: 7E5A032C
	v_pk_fma_f32 v[164:165], v[116:117], v[44:45], v[164:165]  // 000000003BF4: D3B040A4 1E925974
	v_pk_fma_f32 v[166:167], v[118:119], v[44:45], v[166:167]  // 000000003BFC: D3B040A6 1E9A5976
	v_pk_fma_f32 v[172:173], v[124:125], v[44:45], v[172:173]  // 000000003C04: D3B040AC 1EB2597C
	v_pk_fma_f32 v[174:175], v[126:127], v[44:45], v[174:175]  // 000000003C0C: D3B040AE 1EBA597E
	v_mul_f32_dpp v44, v22, v15 row_newbcast:2 row_mask:0xf bank_mask:0xf// 000000003C14: 0A581EFA FF015216
	v_mov_b32_e32 v45, v44                                     // 000000003C1C: 7E5A032C
	v_pk_fma_f32 v[180:181], v[132:133], v[44:45], v[180:181]  // 000000003C20: D3B040B4 1ED25984
	v_pk_fma_f32 v[182:183], v[134:135], v[44:45], v[182:183]  // 000000003C28: D3B040B6 1EDA5986
	v_pk_fma_f32 v[188:189], v[140:141], v[44:45], v[188:189]  // 000000003C30: D3B040BC 1EF2598C
	v_pk_fma_f32 v[190:191], v[142:143], v[44:45], v[190:191]  // 000000003C38: D3B040BE 1EFA598E
	s_waitcnt vmcnt(24)                                        // 000000003C40: BF8C4F78
	v_mfma_f32_16x16x128_f8f6f4 v[96:99], a[48:55], v[200:207], 0// 000000003C44: D3AD0060 0A039130
	v_mfma_f32_16x16x128_f8f6f4 v[100:103], a[48:55], v[216:223], 0// 000000003C4C: D3AD0064 0A03B130
	buffer_load_dwordx4 a[144:147], v34, s[92:95], 0 offen offset:2048// 000000003C54: E05C1800 80979022
	buffer_load_dwordx4 a[148:151], v34, s[92:95], 0 offen offset:3072// 000000003C5C: E05C1C00 80979422
	v_mfma_f32_16x16x128_f8f6f4 v[104:107], a[56:63], v[200:207], 0// 000000003C64: D3AD0068 0A039138
	v_mfma_f32_16x16x128_f8f6f4 v[108:111], a[56:63], v[216:223], 0// 000000003C6C: D3AD006C 0A03B138
	buffer_load_dwordx4 a[152:155], v35, s[92:95], 0 offen offset:2048// 000000003C74: E05C1800 80979823
	buffer_load_dwordx4 a[156:159], v35, s[92:95], 0 offen offset:3072// 000000003C7C: E05C1C00 80979C23
	s_waitcnt vmcnt(24)                                        // 000000003C84: BF8C4F78
	v_mfma_f32_16x16x128_f8f6f4 v[112:115], a[64:71], v[200:207], 0// 000000003C88: D3AD0070 0A039140
	v_mfma_f32_16x16x128_f8f6f4 v[116:119], a[64:71], v[216:223], 0// 000000003C90: D3AD0074 0A03B140
	buffer_load_dwordx4 a[160:163], v36, s[92:95], 0 offen offset:2048// 000000003C98: E05C1800 8097A024
	buffer_load_dwordx4 a[164:167], v36, s[92:95], 0 offen offset:3072// 000000003CA0: E05C1C00 8097A424
	v_mfma_f32_16x16x128_f8f6f4 v[120:123], a[72:79], v[200:207], 0// 000000003CA8: D3AD0078 0A039148
	v_mfma_f32_16x16x128_f8f6f4 v[124:127], a[72:79], v[216:223], 0// 000000003CB0: D3AD007C 0A03B148
	buffer_load_dwordx4 a[168:171], v37, s[92:95], 0 offen offset:2048// 000000003CB8: E05C1800 8097A825
	buffer_load_dwordx4 a[172:175], v37, s[92:95], 0 offen offset:3072// 000000003CC0: E05C1C00 8097AC25
	s_waitcnt vmcnt(24)                                        // 000000003CC8: BF8C4F78
	v_mfma_f32_16x16x128_f8f6f4 v[128:131], a[80:87], v[200:207], 0// 000000003CCC: D3AD0080 0A039150
	v_mfma_f32_16x16x128_f8f6f4 v[132:135], a[80:87], v[216:223], 0// 000000003CD4: D3AD0084 0A03B150
	buffer_load_dwordx4 a[176:179], v38, s[92:95], 0 offen offset:2048// 000000003CDC: E05C1800 8097B026
	buffer_load_dwordx4 a[180:183], v38, s[92:95], 0 offen offset:3072// 000000003CE4: E05C1C00 8097B426
	v_mfma_f32_16x16x128_f8f6f4 v[136:139], a[88:95], v[200:207], 0// 000000003CEC: D3AD0088 0A039158
	v_mfma_f32_16x16x128_f8f6f4 v[140:143], a[88:95], v[216:223], 0// 000000003CF4: D3AD008C 0A03B158
	buffer_load_dwordx4 a[184:187], v39, s[92:95], 0 offen offset:2048// 000000003CFC: E05C1800 8097B827
	buffer_load_dwordx4 a[188:191], v39, s[92:95], 0 offen offset:3072// 000000003D04: E05C1C00 8097BC27
	v_mul_f32_dpp v44, v22, v16 row_newbcast:4 row_mask:0xf bank_mask:0xf// 000000003D0C: 0A5820FA FF015416
	v_mov_b32_e32 v45, v44                                     // 000000003D14: 7E5A032C
	v_pk_fma_f32 v[144:145], v[96:97], v[44:45], v[144:145]    // 000000003D18: D3B04090 1E425960
	v_pk_fma_f32 v[146:147], v[98:99], v[44:45], v[146:147]    // 000000003D20: D3B04092 1E4A5962
	v_pk_fma_f32 v[152:153], v[104:105], v[44:45], v[152:153]  // 000000003D28: D3B04098 1E625968
	v_pk_fma_f32 v[154:155], v[106:107], v[44:45], v[154:155]  // 000000003D30: D3B0409A 1E6A596A
	v_mul_f32_dpp v44, v22, v16 row_newbcast:5 row_mask:0xf bank_mask:0xf// 000000003D38: 0A5820FA FF015516
	v_mov_b32_e32 v45, v44                                     // 000000003D40: 7E5A032C
	v_pk_fma_f32 v[160:161], v[112:113], v[44:45], v[160:161]  // 000000003D44: D3B040A0 1E825970
	v_pk_fma_f32 v[162:163], v[114:115], v[44:45], v[162:163]  // 000000003D4C: D3B040A2 1E8A5972
	v_pk_fma_f32 v[168:169], v[120:121], v[44:45], v[168:169]  // 000000003D54: D3B040A8 1EA25978
	v_pk_fma_f32 v[170:171], v[122:123], v[44:45], v[170:171]  // 000000003D5C: D3B040AA 1EAA597A
	v_mul_f32_dpp v44, v22, v16 row_newbcast:6 row_mask:0xf bank_mask:0xf// 000000003D64: 0A5820FA FF015616
	v_mov_b32_e32 v45, v44                                     // 000000003D6C: 7E5A032C
	v_pk_fma_f32 v[176:177], v[128:129], v[44:45], v[176:177]  // 000000003D70: D3B040B0 1EC25980
	v_pk_fma_f32 v[178:179], v[130:131], v[44:45], v[178:179]  // 000000003D78: D3B040B2 1ECA5982
	v_pk_fma_f32 v[184:185], v[136:137], v[44:45], v[184:185]  // 000000003D80: D3B040B8 1EE25988
	v_pk_fma_f32 v[186:187], v[138:139], v[44:45], v[186:187]  // 000000003D88: D3B040BA 1EEA598A
	v_mul_f32_dpp v44, v22, v17 row_newbcast:4 row_mask:0xf bank_mask:0xf// 000000003D90: 0A5822FA FF015416
	v_mov_b32_e32 v45, v44                                     // 000000003D98: 7E5A032C
	v_pk_fma_f32 v[148:149], v[100:101], v[44:45], v[148:149]  // 000000003D9C: D3B04094 1E525964
	v_pk_fma_f32 v[150:151], v[102:103], v[44:45], v[150:151]  // 000000003DA4: D3B04096 1E5A5966
	v_pk_fma_f32 v[156:157], v[108:109], v[44:45], v[156:157]  // 000000003DAC: D3B0409C 1E72596C
	v_pk_fma_f32 v[158:159], v[110:111], v[44:45], v[158:159]  // 000000003DB4: D3B0409E 1E7A596E
	v_mul_f32_dpp v44, v22, v17 row_newbcast:5 row_mask:0xf bank_mask:0xf// 000000003DBC: 0A5822FA FF015516
	v_mov_b32_e32 v45, v44                                     // 000000003DC4: 7E5A032C
	v_pk_fma_f32 v[164:165], v[116:117], v[44:45], v[164:165]  // 000000003DC8: D3B040A4 1E925974
	v_pk_fma_f32 v[166:167], v[118:119], v[44:45], v[166:167]  // 000000003DD0: D3B040A6 1E9A5976
	v_pk_fma_f32 v[172:173], v[124:125], v[44:45], v[172:173]  // 000000003DD8: D3B040AC 1EB2597C
	v_pk_fma_f32 v[174:175], v[126:127], v[44:45], v[174:175]  // 000000003DE0: D3B040AE 1EBA597E
	v_mul_f32_dpp v44, v22, v17 row_newbcast:6 row_mask:0xf bank_mask:0xf// 000000003DE8: 0A5822FA FF015616
	v_mov_b32_e32 v45, v44                                     // 000000003DF0: 7E5A032C
	v_pk_fma_f32 v[180:181], v[132:133], v[44:45], v[180:181]  // 000000003DF4: D3B040B4 1ED25984
	v_pk_fma_f32 v[182:183], v[134:135], v[44:45], v[182:183]  // 000000003DFC: D3B040B6 1EDA5986
	v_pk_fma_f32 v[188:189], v[140:141], v[44:45], v[188:189]  // 000000003E04: D3B040BC 1EF2598C
	v_pk_fma_f32 v[190:191], v[142:143], v[44:45], v[190:191]  // 000000003E0C: D3B040BE 1EFA598E
	s_add_u32 s60, 0x100, s80                                  // 000000003E14: 803C50FF 00000100
	s_cmp_lt_u32 s60, s81                                      // 000000003E1C: BF0A513C
	s_cselect_b32 s4, s4, 0                                    // 000000003E20: 85048004
	s_add_u32 s32, s4, s32                                     // 000000003E24: 80202004
	s_addc_u32 s33, 0, s33                                     // 000000003E28: 82212180
	s_waitcnt vmcnt(20)                                        // 000000003E2C: BF8C4F74
	s_barrier                                                  // 000000003E30: BF8A0000
	v_mfma_f32_16x16x128_f8f6f4 v[96:99], a[96:103], v[192:199], 0// 000000003E34: D3AD0060 0A038160
	v_mfma_f32_16x16x128_f8f6f4 v[100:103], a[96:103], v[208:215], 0// 000000003E3C: D3AD0064 0A03A160
	buffer_load_dwordx4 a[0:3], v34, s[24:27], 0 offen         // 000000003E44: E05C1000 80860022
	buffer_load_dwordx4 a[4:7], v34, s[24:27], 0 offen offset:1024// 000000003E4C: E05C1400 80860422
	buffer_load_dword v22, v10, s[32:35], 0 offen              // 000000003E54: E0501000 8008160A
	v_mfma_f32_16x16x128_f8f6f4 v[104:107], a[104:111], v[192:199], 0// 000000003E5C: D3AD0068 0A038168
	v_mfma_f32_16x16x128_f8f6f4 v[108:111], a[104:111], v[208:215], 0// 000000003E64: D3AD006C 0A03A168
	buffer_load_dwordx4 a[8:11], v35, s[24:27], 0 offen        // 000000003E6C: E05C1000 80860823
	buffer_load_dwordx4 a[12:15], v35, s[24:27], 0 offen offset:1024// 000000003E74: E05C1400 80860C23
	s_waitcnt vmcnt(21)                                        // 000000003E7C: BF8C4F75
	v_mfma_f32_16x16x128_f8f6f4 v[112:115], a[112:119], v[192:199], 0// 000000003E80: D3AD0070 0A038170
	v_mfma_f32_16x16x128_f8f6f4 v[116:119], a[112:119], v[208:215], 0// 000000003E88: D3AD0074 0A03A170
	buffer_load_dwordx4 a[16:19], v36, s[24:27], 0 offen       // 000000003E90: E05C1000 80861024
	buffer_load_dwordx4 a[20:23], v36, s[24:27], 0 offen offset:1024// 000000003E98: E05C1400 80861424
	v_mfma_f32_16x16x128_f8f6f4 v[120:123], a[120:127], v[192:199], 0// 000000003EA0: D3AD0078 0A038178
	v_mfma_f32_16x16x128_f8f6f4 v[124:127], a[120:127], v[208:215], 0// 000000003EA8: D3AD007C 0A03A178
	buffer_load_dwordx4 a[24:27], v37, s[24:27], 0 offen       // 000000003EB0: E05C1000 80861825
	buffer_load_dwordx4 a[28:31], v37, s[24:27], 0 offen offset:1024// 000000003EB8: E05C1400 80861C25
	s_waitcnt vmcnt(21)                                        // 000000003EC0: BF8C4F75
	v_mfma_f32_16x16x128_f8f6f4 v[128:131], a[128:135], v[192:199], 0// 000000003EC4: D3AD0080 0A038180
	v_mfma_f32_16x16x128_f8f6f4 v[132:135], a[128:135], v[208:215], 0// 000000003ECC: D3AD0084 0A03A180
	buffer_load_dwordx4 a[32:35], v38, s[24:27], 0 offen       // 000000003ED4: E05C1000 80862026
	buffer_load_dwordx4 a[36:39], v38, s[24:27], 0 offen offset:1024// 000000003EDC: E05C1400 80862426
	v_mfma_f32_16x16x128_f8f6f4 v[136:139], a[136:143], v[192:199], 0// 000000003EE4: D3AD0088 0A038188
	v_mfma_f32_16x16x128_f8f6f4 v[140:143], a[136:143], v[208:215], 0// 000000003EEC: D3AD008C 0A03A188
	buffer_load_dwordx4 a[40:43], v39, s[24:27], 0 offen       // 000000003EF4: E05C1000 80862827
	buffer_load_dwordx4 a[44:47], v39, s[24:27], 0 offen offset:1024// 000000003EFC: E05C1400 80862C27
	v_mul_f32_dpp v44, v23, v14 row_newbcast:0 row_mask:0xf bank_mask:0xf// 000000003F04: 0A581CFA FF015017
	v_mov_b32_e32 v45, v44                                     // 000000003F0C: 7E5A032C
	v_pk_fma_f32 v[48:49], v[96:97], v[44:45], v[48:49]        // 000000003F10: D3B04030 1CC25960
	v_pk_fma_f32 v[50:51], v[98:99], v[44:45], v[50:51]        // 000000003F18: D3B04032 1CCA5962
	v_pk_fma_f32 v[56:57], v[104:105], v[44:45], v[56:57]      // 000000003F20: D3B04038 1CE25968
	v_pk_fma_f32 v[58:59], v[106:107], v[44:45], v[58:59]      // 000000003F28: D3B0403A 1CEA596A
	v_mul_f32_dpp v44, v23, v14 row_newbcast:1 row_mask:0xf bank_mask:0xf// 000000003F30: 0A581CFA FF015117
	v_mov_b32_e32 v45, v44                                     // 000000003F38: 7E5A032C
	v_pk_fma_f32 v[64:65], v[112:113], v[44:45], v[64:65]      // 000000003F3C: D3B04040 1D025970
	v_pk_fma_f32 v[66:67], v[114:115], v[44:45], v[66:67]      // 000000003F44: D3B04042 1D0A5972
	v_pk_fma_f32 v[72:73], v[120:121], v[44:45], v[72:73]      // 000000003F4C: D3B04048 1D225978
	v_pk_fma_f32 v[74:75], v[122:123], v[44:45], v[74:75]      // 000000003F54: D3B0404A 1D2A597A
	v_mul_f32_dpp v44, v23, v14 row_newbcast:2 row_mask:0xf bank_mask:0xf// 000000003F5C: 0A581CFA FF015217
	v_mov_b32_e32 v45, v44                                     // 000000003F64: 7E5A032C
	v_pk_fma_f32 v[80:81], v[128:129], v[44:45], v[80:81]      // 000000003F68: D3B04050 1D425980
	v_pk_fma_f32 v[82:83], v[130:131], v[44:45], v[82:83]      // 000000003F70: D3B04052 1D4A5982
	v_pk_fma_f32 v[88:89], v[136:137], v[44:45], v[88:89]      // 000000003F78: D3B04058 1D625988
	v_pk_fma_f32 v[90:91], v[138:139], v[44:45], v[90:91]      // 000000003F80: D3B0405A 1D6A598A
	v_mul_f32_dpp v44, v23, v15 row_newbcast:0 row_mask:0xf bank_mask:0xf// 000000003F88: 0A581EFA FF015017
	v_mov_b32_e32 v45, v44                                     // 000000003F90: 7E5A032C
	v_pk_fma_f32 v[52:53], v[100:101], v[44:45], v[52:53]      // 000000003F94: D3B04034 1CD25964
	v_pk_fma_f32 v[54:55], v[102:103], v[44:45], v[54:55]      // 000000003F9C: D3B04036 1CDA5966
	v_pk_fma_f32 v[60:61], v[108:109], v[44:45], v[60:61]      // 000000003FA4: D3B0403C 1CF2596C
	v_pk_fma_f32 v[62:63], v[110:111], v[44:45], v[62:63]      // 000000003FAC: D3B0403E 1CFA596E
	v_mul_f32_dpp v44, v23, v15 row_newbcast:1 row_mask:0xf bank_mask:0xf// 000000003FB4: 0A581EFA FF015117
	v_mov_b32_e32 v45, v44                                     // 000000003FBC: 7E5A032C
	v_pk_fma_f32 v[68:69], v[116:117], v[44:45], v[68:69]      // 000000003FC0: D3B04044 1D125974
	v_pk_fma_f32 v[70:71], v[118:119], v[44:45], v[70:71]      // 000000003FC8: D3B04046 1D1A5976
	v_pk_fma_f32 v[76:77], v[124:125], v[44:45], v[76:77]      // 000000003FD0: D3B0404C 1D32597C
	v_pk_fma_f32 v[78:79], v[126:127], v[44:45], v[78:79]      // 000000003FD8: D3B0404E 1D3A597E
	v_mul_f32_dpp v44, v23, v15 row_newbcast:2 row_mask:0xf bank_mask:0xf// 000000003FE0: 0A581EFA FF015217
	v_mov_b32_e32 v45, v44                                     // 000000003FE8: 7E5A032C
	v_pk_fma_f32 v[84:85], v[132:133], v[44:45], v[84:85]      // 000000003FEC: D3B04054 1D525984
	v_pk_fma_f32 v[86:87], v[134:135], v[44:45], v[86:87]      // 000000003FF4: D3B04056 1D5A5986
	v_pk_fma_f32 v[92:93], v[140:141], v[44:45], v[92:93]      // 000000003FFC: D3B0405C 1D72598C
	v_pk_fma_f32 v[94:95], v[142:143], v[44:45], v[94:95]      // 000000004004: D3B0405E 1D7A598E
	s_waitcnt vmcnt(21)                                        // 00000000400C: BF8C4F75
	v_mfma_f32_16x16x128_f8f6f4 v[96:99], a[144:151], v[200:207], 0// 000000004010: D3AD0060 0A039190
	ds_read_b128 v[224:227], v1 offset:9472                    // 000000004018: D9FE2500 E0000001
	ds_read_b128 v[228:231], v1 offset:9536                    // 000000004020: D9FE2540 E4000001
	ds_read_b32 v18, v2 offset:17920                           // 000000004028: D86C4600 12000002
	v_mfma_f32_16x16x128_f8f6f4 v[100:103], a[144:151], v[216:223], 0// 000000004030: D3AD0064 0A03B190
	buffer_load_dwordx4 a[48:51], v34, s[24:27], 0 offen offset:2048// 000000004038: E05C1800 80863022
	buffer_load_dwordx4 a[52:55], v34, s[24:27], 0 offen offset:3072// 000000004040: E05C1C00 80863422
	v_mfma_f32_16x16x128_f8f6f4 v[104:107], a[152:159], v[200:207], 0// 000000004048: D3AD0068 0A039198
	ds_read_b128 v[232:235], v1 offset:13696                   // 000000004050: D9FE3580 E8000001
	ds_read_b128 v[236:239], v1 offset:13760                   // 000000004058: D9FE35C0 EC000001
	ds_read_b32 v19, v2 offset:18176                           // 000000004060: D86C4700 13000002
	v_mfma_f32_16x16x128_f8f6f4 v[108:111], a[152:159], v[216:223], 0// 000000004068: D3AD006C 0A03B198
	buffer_load_dwordx4 a[56:59], v35, s[24:27], 0 offen offset:2048// 000000004070: E05C1800 80863823
	buffer_load_dwordx4 a[60:63], v35, s[24:27], 0 offen offset:3072// 000000004078: E05C1C00 80863C23
	s_waitcnt vmcnt(21)                                        // 000000004080: BF8C4F75
	v_mfma_f32_16x16x128_f8f6f4 v[112:115], a[160:167], v[200:207], 0// 000000004084: D3AD0070 0A0391A0
	ds_read_b128 v[240:243], v1 offset:9984                    // 00000000408C: D9FE2700 F0000001
	ds_read_b128 v[244:247], v1 offset:10048                   // 000000004094: D9FE2740 F4000001
	ds_read_b32 v20, v2 offset:18432                           // 00000000409C: D86C4800 14000002
	v_mfma_f32_16x16x128_f8f6f4 v[116:119], a[160:167], v[216:223], 0// 0000000040A4: D3AD0074 0A03B1A0
	buffer_load_dwordx4 a[64:67], v36, s[24:27], 0 offen offset:2048// 0000000040AC: E05C1800 80864024
	buffer_load_dwordx4 a[68:71], v36, s[24:27], 0 offen offset:3072// 0000000040B4: E05C1C00 80864424
	v_mfma_f32_16x16x128_f8f6f4 v[120:123], a[168:175], v[200:207], 0// 0000000040BC: D3AD0078 0A0391A8
	ds_read_b128 v[248:251], v1 offset:14208                   // 0000000040C4: D9FE3780 F8000001
	ds_read_b128 v[252:255], v1 offset:14272                   // 0000000040CC: D9FE37C0 FC000001
	ds_read_b32 v21, v2 offset:18688                           // 0000000040D4: D86C4900 15000002
	v_mfma_f32_16x16x128_f8f6f4 v[124:127], a[168:175], v[216:223], 0// 0000000040DC: D3AD007C 0A03B1A8
	buffer_load_dwordx4 a[72:75], v37, s[24:27], 0 offen offset:2048// 0000000040E4: E05C1800 80864825
	buffer_load_dwordx4 a[76:79], v37, s[24:27], 0 offen offset:3072// 0000000040EC: E05C1C00 80864C25
	s_waitcnt vmcnt(21)                                        // 0000000040F4: BF8C4F75
	v_mfma_f32_16x16x128_f8f6f4 v[128:131], a[176:183], v[200:207], 0// 0000000040F8: D3AD0080 0A0391B0
	v_mfma_f32_16x16x128_f8f6f4 v[132:135], a[176:183], v[216:223], 0// 000000004100: D3AD0084 0A03B1B0
	buffer_load_dwordx4 a[80:83], v38, s[24:27], 0 offen offset:2048// 000000004108: E05C1800 80865026
	buffer_load_dwordx4 a[84:87], v38, s[24:27], 0 offen offset:3072// 000000004110: E05C1C00 80865426
	v_mfma_f32_16x16x128_f8f6f4 v[136:139], a[184:191], v[200:207], 0// 000000004118: D3AD0088 0A0391B8
	v_mfma_f32_16x16x128_f8f6f4 v[140:143], a[184:191], v[216:223], 0// 000000004120: D3AD008C 0A03B1B8
	buffer_load_dwordx4 a[88:91], v39, s[24:27], 0 offen offset:2048// 000000004128: E05C1800 80865827
	buffer_load_dwordx4 a[92:95], v39, s[24:27], 0 offen offset:3072// 000000004130: E05C1C00 80865C27
	v_mul_f32_dpp v44, v23, v16 row_newbcast:4 row_mask:0xf bank_mask:0xf// 000000004138: 0A5820FA FF015417
	v_mov_b32_e32 v45, v44                                     // 000000004140: 7E5A032C
	v_pk_fma_f32 v[48:49], v[96:97], v[44:45], v[48:49]        // 000000004144: D3B04030 1CC25960
	v_pk_fma_f32 v[50:51], v[98:99], v[44:45], v[50:51]        // 00000000414C: D3B04032 1CCA5962
	v_pk_fma_f32 v[56:57], v[104:105], v[44:45], v[56:57]      // 000000004154: D3B04038 1CE25968
	v_pk_fma_f32 v[58:59], v[106:107], v[44:45], v[58:59]      // 00000000415C: D3B0403A 1CEA596A
	v_mul_f32_dpp v44, v23, v16 row_newbcast:5 row_mask:0xf bank_mask:0xf// 000000004164: 0A5820FA FF015517
	v_mov_b32_e32 v45, v44                                     // 00000000416C: 7E5A032C
	v_pk_fma_f32 v[64:65], v[112:113], v[44:45], v[64:65]      // 000000004170: D3B04040 1D025970
	v_pk_fma_f32 v[66:67], v[114:115], v[44:45], v[66:67]      // 000000004178: D3B04042 1D0A5972
	v_pk_fma_f32 v[72:73], v[120:121], v[44:45], v[72:73]      // 000000004180: D3B04048 1D225978
	v_pk_fma_f32 v[74:75], v[122:123], v[44:45], v[74:75]      // 000000004188: D3B0404A 1D2A597A
	v_mul_f32_dpp v44, v23, v16 row_newbcast:6 row_mask:0xf bank_mask:0xf// 000000004190: 0A5820FA FF015617
	v_mov_b32_e32 v45, v44                                     // 000000004198: 7E5A032C
	v_pk_fma_f32 v[80:81], v[128:129], v[44:45], v[80:81]      // 00000000419C: D3B04050 1D425980
	v_pk_fma_f32 v[82:83], v[130:131], v[44:45], v[82:83]      // 0000000041A4: D3B04052 1D4A5982
	v_pk_fma_f32 v[88:89], v[136:137], v[44:45], v[88:89]      // 0000000041AC: D3B04058 1D625988
	v_pk_fma_f32 v[90:91], v[138:139], v[44:45], v[90:91]      // 0000000041B4: D3B0405A 1D6A598A
	v_mul_f32_dpp v44, v23, v17 row_newbcast:4 row_mask:0xf bank_mask:0xf// 0000000041BC: 0A5822FA FF015417
	v_mov_b32_e32 v45, v44                                     // 0000000041C4: 7E5A032C
	v_pk_fma_f32 v[52:53], v[100:101], v[44:45], v[52:53]      // 0000000041C8: D3B04034 1CD25964
	v_pk_fma_f32 v[54:55], v[102:103], v[44:45], v[54:55]      // 0000000041D0: D3B04036 1CDA5966
	v_pk_fma_f32 v[60:61], v[108:109], v[44:45], v[60:61]      // 0000000041D8: D3B0403C 1CF2596C
	v_pk_fma_f32 v[62:63], v[110:111], v[44:45], v[62:63]      // 0000000041E0: D3B0403E 1CFA596E
	v_mul_f32_dpp v44, v23, v17 row_newbcast:5 row_mask:0xf bank_mask:0xf// 0000000041E8: 0A5822FA FF015517
	v_mov_b32_e32 v45, v44                                     // 0000000041F0: 7E5A032C
	v_pk_fma_f32 v[68:69], v[116:117], v[44:45], v[68:69]      // 0000000041F4: D3B04044 1D125974
	v_pk_fma_f32 v[70:71], v[118:119], v[44:45], v[70:71]      // 0000000041FC: D3B04046 1D1A5976
	v_pk_fma_f32 v[76:77], v[124:125], v[44:45], v[76:77]      // 000000004204: D3B0404C 1D32597C
	v_pk_fma_f32 v[78:79], v[126:127], v[44:45], v[78:79]      // 00000000420C: D3B0404E 1D3A597E
	v_mul_f32_dpp v44, v23, v17 row_newbcast:6 row_mask:0xf bank_mask:0xf// 000000004214: 0A5822FA FF015617
	v_mov_b32_e32 v45, v44                                     // 00000000421C: 7E5A032C
	v_pk_fma_f32 v[84:85], v[132:133], v[44:45], v[84:85]      // 000000004220: D3B04054 1D525984
	v_pk_fma_f32 v[86:87], v[134:135], v[44:45], v[86:87]      // 000000004228: D3B04056 1D5A5986
	v_pk_fma_f32 v[92:93], v[140:141], v[44:45], v[92:93]      // 000000004230: D3B0405C 1D72598C
	v_pk_fma_f32 v[94:95], v[142:143], v[44:45], v[94:95]      // 000000004238: D3B0405E 1D7A598E
	s_add_u32 s60, 0x200, s80                                  // 000000004240: 803C50FF 00000200
	s_cmp_lt_u32 s60, s81                                      // 000000004248: BF0A513C
	s_cselect_b32 s57, s57, 0                                  // 00000000424C: 85398039
	s_cselect_b32 s3, s3, 0                                    // 000000004250: 85038003
	s_add_u32 s60, 0x200, s80                                  // 000000004254: 803C50FF 00000200
	s_cmp_lt_u32 s60, s81                                      // 00000000425C: BF0A513C
	s_cselect_b32 s58, s58, 0                                  // 000000004260: 853A803A
	s_add_u32 s20, s57, s20                                    // 000000004264: 80141439
	s_addc_u32 s21, 0, s21                                     // 000000004268: 82151580
	s_add_u32 s28, s3, s28                                     // 00000000426C: 801C1C03
	s_addc_u32 s29, 0, s29                                     // 000000004270: 821D1D80
	s_add_u32 s24, s58, s24                                    // 000000004274: 8018183A
	s_addc_u32 s25, 0, s25                                     // 000000004278: 82191980
	s_add_u32 s92, s90, s92                                    // 00000000427C: 805C5C5A
	s_addc_u32 s93, 0, s93                                     // 000000004280: 825D5D80
	s_addk_i32 s80, 0x100                                      // 000000004284: B7500100
	s_cmp_lt_i32 s80, s81                                      // 000000004288: BF045150
	s_cbranch_scc0 label_073B                                  // 00000000428C: BF840217
	s_waitcnt vmcnt(20) lgkmcnt(0)                             // 000000004290: BF8C4074
	s_barrier                                                  // 000000004294: BF8A0000
	v_mfma_f32_16x16x128_f8f6f4 v[96:99], a[0:7], v[224:231], 0// 000000004298: D3AD0060 0A03C100
	v_mfma_f32_16x16x128_f8f6f4 v[100:103], a[0:7], v[240:247], 0// 0000000042A0: D3AD0064 0A03E100
	buffer_load_dwordx4 a[96:99], v34, s[92:95], 0 offen       // 0000000042A8: E05C1000 80976022
	buffer_load_dwordx4 a[100:103], v34, s[92:95], 0 offen offset:1024// 0000000042B0: E05C1400 80976422
	buffer_load_dwordx4 v26, s[20:23], 0 offen lds             // 0000000042B8: E05D1000 8005001A
	s_add_u32 m0, 0x1080, s50                                  // 0000000042C0: 807C32FF 00001080
	buffer_load_dwordx4 v27, s[20:23], 0 offen lds             // 0000000042C8: E05D1000 8005001B
	s_add_u32 m0, m0, s76                                      // 0000000042D0: 807C4C7C
	v_mfma_f32_16x16x128_f8f6f4 v[104:107], a[8:15], v[224:231], 0// 0000000042D4: D3AD0068 0A03C108
	v_mfma_f32_16x16x128_f8f6f4 v[108:111], a[8:15], v[240:247], 0// 0000000042DC: D3AD006C 0A03E108
	buffer_load_dwordx4 a[104:107], v35, s[92:95], 0 offen     // 0000000042E4: E05C1000 80976823
	buffer_load_dwordx4 a[108:111], v35, s[92:95], 0 offen offset:1024// 0000000042EC: E05C1400 80976C23
	buffer_load_dword v6, s[28:31], 0 offen lds                // 0000000042F4: E0511000 80070006
	s_add_u32 m0, 0, s51                                       // 0000000042FC: 807C3380
	buffer_load_dword v23, v12, s[32:35], 0 offen              // 000000004300: E0501000 8008170C
	s_waitcnt vmcnt(24)                                        // 000000004308: BF8C4F78
	v_mfma_f32_16x16x128_f8f6f4 v[112:115], a[16:23], v[224:231], 0// 00000000430C: D3AD0070 0A03C110
	v_mfma_f32_16x16x128_f8f6f4 v[116:119], a[16:23], v[240:247], 0// 000000004314: D3AD0074 0A03E110
	buffer_load_dwordx4 a[112:115], v36, s[92:95], 0 offen     // 00000000431C: E05C1000 80977024
	buffer_load_dwordx4 a[116:119], v36, s[92:95], 0 offen offset:1024// 000000004324: E05C1400 80977424
	v_mfma_f32_16x16x128_f8f6f4 v[120:123], a[24:31], v[224:231], 0// 00000000432C: D3AD0078 0A03C118
	v_mfma_f32_16x16x128_f8f6f4 v[124:127], a[24:31], v[240:247], 0// 000000004334: D3AD007C 0A03E118
	buffer_load_dwordx4 a[120:123], v37, s[92:95], 0 offen     // 00000000433C: E05C1000 80977825
	buffer_load_dwordx4 a[124:127], v37, s[92:95], 0 offen offset:1024// 000000004344: E05C1400 80977C25
	s_waitcnt vmcnt(24)                                        // 00000000434C: BF8C4F78
	v_mfma_f32_16x16x128_f8f6f4 v[128:131], a[32:39], v[224:231], 0// 000000004350: D3AD0080 0A03C120
	v_mfma_f32_16x16x128_f8f6f4 v[132:135], a[32:39], v[240:247], 0// 000000004358: D3AD0084 0A03E120
	buffer_load_dwordx4 a[128:131], v38, s[92:95], 0 offen     // 000000004360: E05C1000 80978026
	buffer_load_dwordx4 a[132:135], v38, s[92:95], 0 offen offset:1024// 000000004368: E05C1400 80978426
	v_mfma_f32_16x16x128_f8f6f4 v[136:139], a[40:47], v[224:231], 0// 000000004370: D3AD0088 0A03C128
	v_mfma_f32_16x16x128_f8f6f4 v[140:143], a[40:47], v[240:247], 0// 000000004378: D3AD008C 0A03E128
	buffer_load_dwordx4 a[136:139], v39, s[92:95], 0 offen     // 000000004380: E05C1000 80978827
	buffer_load_dwordx4 a[140:143], v39, s[92:95], 0 offen offset:1024// 000000004388: E05C1400 80978C27
	v_mul_f32_dpp v44, v22, v18 row_newbcast:0 row_mask:0xf bank_mask:0xf// 000000004390: 0A5824FA FF015016
	v_mov_b32_e32 v45, v44                                     // 000000004398: 7E5A032C
	v_pk_fma_f32 v[144:145], v[96:97], v[44:45], v[144:145]    // 00000000439C: D3B04090 1E425960
	v_pk_fma_f32 v[146:147], v[98:99], v[44:45], v[146:147]    // 0000000043A4: D3B04092 1E4A5962
	v_pk_fma_f32 v[152:153], v[104:105], v[44:45], v[152:153]  // 0000000043AC: D3B04098 1E625968
	v_pk_fma_f32 v[154:155], v[106:107], v[44:45], v[154:155]  // 0000000043B4: D3B0409A 1E6A596A
	v_mul_f32_dpp v44, v22, v18 row_newbcast:1 row_mask:0xf bank_mask:0xf// 0000000043BC: 0A5824FA FF015116
	v_mov_b32_e32 v45, v44                                     // 0000000043C4: 7E5A032C
	v_pk_fma_f32 v[160:161], v[112:113], v[44:45], v[160:161]  // 0000000043C8: D3B040A0 1E825970
	v_pk_fma_f32 v[162:163], v[114:115], v[44:45], v[162:163]  // 0000000043D0: D3B040A2 1E8A5972
	v_pk_fma_f32 v[168:169], v[120:121], v[44:45], v[168:169]  // 0000000043D8: D3B040A8 1EA25978
	v_pk_fma_f32 v[170:171], v[122:123], v[44:45], v[170:171]  // 0000000043E0: D3B040AA 1EAA597A
	v_mul_f32_dpp v44, v22, v18 row_newbcast:2 row_mask:0xf bank_mask:0xf// 0000000043E8: 0A5824FA FF015216
	v_mov_b32_e32 v45, v44                                     // 0000000043F0: 7E5A032C
	v_pk_fma_f32 v[176:177], v[128:129], v[44:45], v[176:177]  // 0000000043F4: D3B040B0 1EC25980
	v_pk_fma_f32 v[178:179], v[130:131], v[44:45], v[178:179]  // 0000000043FC: D3B040B2 1ECA5982
	v_pk_fma_f32 v[184:185], v[136:137], v[44:45], v[184:185]  // 000000004404: D3B040B8 1EE25988
	v_pk_fma_f32 v[186:187], v[138:139], v[44:45], v[186:187]  // 00000000440C: D3B040BA 1EEA598A
	v_mul_f32_dpp v44, v22, v19 row_newbcast:0 row_mask:0xf bank_mask:0xf// 000000004414: 0A5826FA FF015016
	v_mov_b32_e32 v45, v44                                     // 00000000441C: 7E5A032C
	v_pk_fma_f32 v[148:149], v[100:101], v[44:45], v[148:149]  // 000000004420: D3B04094 1E525964
	v_pk_fma_f32 v[150:151], v[102:103], v[44:45], v[150:151]  // 000000004428: D3B04096 1E5A5966
	v_pk_fma_f32 v[156:157], v[108:109], v[44:45], v[156:157]  // 000000004430: D3B0409C 1E72596C
	v_pk_fma_f32 v[158:159], v[110:111], v[44:45], v[158:159]  // 000000004438: D3B0409E 1E7A596E
	v_mul_f32_dpp v44, v22, v19 row_newbcast:1 row_mask:0xf bank_mask:0xf// 000000004440: 0A5826FA FF015116
	v_mov_b32_e32 v45, v44                                     // 000000004448: 7E5A032C
	v_pk_fma_f32 v[164:165], v[116:117], v[44:45], v[164:165]  // 00000000444C: D3B040A4 1E925974
	v_pk_fma_f32 v[166:167], v[118:119], v[44:45], v[166:167]  // 000000004454: D3B040A6 1E9A5976
	v_pk_fma_f32 v[172:173], v[124:125], v[44:45], v[172:173]  // 00000000445C: D3B040AC 1EB2597C
	v_pk_fma_f32 v[174:175], v[126:127], v[44:45], v[174:175]  // 000000004464: D3B040AE 1EBA597E
	v_mul_f32_dpp v44, v22, v19 row_newbcast:2 row_mask:0xf bank_mask:0xf// 00000000446C: 0A5826FA FF015216
	v_mov_b32_e32 v45, v44                                     // 000000004474: 7E5A032C
	v_pk_fma_f32 v[180:181], v[132:133], v[44:45], v[180:181]  // 000000004478: D3B040B4 1ED25984
	v_pk_fma_f32 v[182:183], v[134:135], v[44:45], v[182:183]  // 000000004480: D3B040B6 1EDA5986
	v_pk_fma_f32 v[188:189], v[140:141], v[44:45], v[188:189]  // 000000004488: D3B040BC 1EF2598C
	v_pk_fma_f32 v[190:191], v[142:143], v[44:45], v[190:191]  // 000000004490: D3B040BE 1EFA598E
	s_waitcnt vmcnt(24)                                        // 000000004498: BF8C4F78
	v_mfma_f32_16x16x128_f8f6f4 v[96:99], a[48:55], v[232:239], 0// 00000000449C: D3AD0060 0A03D130
	v_mfma_f32_16x16x128_f8f6f4 v[100:103], a[48:55], v[248:255], 0// 0000000044A4: D3AD0064 0A03F130
	buffer_load_dwordx4 a[144:147], v34, s[92:95], 0 offen offset:2048// 0000000044AC: E05C1800 80979022
	buffer_load_dwordx4 a[148:151], v34, s[92:95], 0 offen offset:3072// 0000000044B4: E05C1C00 80979422
	v_mfma_f32_16x16x128_f8f6f4 v[104:107], a[56:63], v[232:239], 0// 0000000044BC: D3AD0068 0A03D138
	v_mfma_f32_16x16x128_f8f6f4 v[108:111], a[56:63], v[248:255], 0// 0000000044C4: D3AD006C 0A03F138
	buffer_load_dwordx4 a[152:155], v35, s[92:95], 0 offen offset:2048// 0000000044CC: E05C1800 80979823
	buffer_load_dwordx4 a[156:159], v35, s[92:95], 0 offen offset:3072// 0000000044D4: E05C1C00 80979C23
	s_waitcnt vmcnt(24)                                        // 0000000044DC: BF8C4F78
	v_mfma_f32_16x16x128_f8f6f4 v[112:115], a[64:71], v[232:239], 0// 0000000044E0: D3AD0070 0A03D140
	v_mfma_f32_16x16x128_f8f6f4 v[116:119], a[64:71], v[248:255], 0// 0000000044E8: D3AD0074 0A03F140
	buffer_load_dwordx4 a[160:163], v36, s[92:95], 0 offen offset:2048// 0000000044F0: E05C1800 8097A024
	buffer_load_dwordx4 a[164:167], v36, s[92:95], 0 offen offset:3072// 0000000044F8: E05C1C00 8097A424
	v_mfma_f32_16x16x128_f8f6f4 v[120:123], a[72:79], v[232:239], 0// 000000004500: D3AD0078 0A03D148
	v_mfma_f32_16x16x128_f8f6f4 v[124:127], a[72:79], v[248:255], 0// 000000004508: D3AD007C 0A03F148
	buffer_load_dwordx4 a[168:171], v37, s[92:95], 0 offen offset:2048// 000000004510: E05C1800 8097A825
	buffer_load_dwordx4 a[172:175], v37, s[92:95], 0 offen offset:3072// 000000004518: E05C1C00 8097AC25
	s_waitcnt vmcnt(24)                                        // 000000004520: BF8C4F78
	v_mfma_f32_16x16x128_f8f6f4 v[128:131], a[80:87], v[232:239], 0// 000000004524: D3AD0080 0A03D150
	v_mfma_f32_16x16x128_f8f6f4 v[132:135], a[80:87], v[248:255], 0// 00000000452C: D3AD0084 0A03F150
	buffer_load_dwordx4 a[176:179], v38, s[92:95], 0 offen offset:2048// 000000004534: E05C1800 8097B026
	buffer_load_dwordx4 a[180:183], v38, s[92:95], 0 offen offset:3072// 00000000453C: E05C1C00 8097B426
	v_mfma_f32_16x16x128_f8f6f4 v[136:139], a[88:95], v[232:239], 0// 000000004544: D3AD0088 0A03D158
	v_mfma_f32_16x16x128_f8f6f4 v[140:143], a[88:95], v[248:255], 0// 00000000454C: D3AD008C 0A03F158
	buffer_load_dwordx4 a[184:187], v39, s[92:95], 0 offen offset:2048// 000000004554: E05C1800 8097B827
	buffer_load_dwordx4 a[188:191], v39, s[92:95], 0 offen offset:3072// 00000000455C: E05C1C00 8097BC27
	v_mul_f32_dpp v44, v22, v20 row_newbcast:4 row_mask:0xf bank_mask:0xf// 000000004564: 0A5828FA FF015416
	v_mov_b32_e32 v45, v44                                     // 00000000456C: 7E5A032C
	v_pk_fma_f32 v[144:145], v[96:97], v[44:45], v[144:145]    // 000000004570: D3B04090 1E425960
	v_pk_fma_f32 v[146:147], v[98:99], v[44:45], v[146:147]    // 000000004578: D3B04092 1E4A5962
	v_pk_fma_f32 v[152:153], v[104:105], v[44:45], v[152:153]  // 000000004580: D3B04098 1E625968
	v_pk_fma_f32 v[154:155], v[106:107], v[44:45], v[154:155]  // 000000004588: D3B0409A 1E6A596A
	v_mul_f32_dpp v44, v22, v20 row_newbcast:5 row_mask:0xf bank_mask:0xf// 000000004590: 0A5828FA FF015516
	v_mov_b32_e32 v45, v44                                     // 000000004598: 7E5A032C
	v_pk_fma_f32 v[160:161], v[112:113], v[44:45], v[160:161]  // 00000000459C: D3B040A0 1E825970
	v_pk_fma_f32 v[162:163], v[114:115], v[44:45], v[162:163]  // 0000000045A4: D3B040A2 1E8A5972
	v_pk_fma_f32 v[168:169], v[120:121], v[44:45], v[168:169]  // 0000000045AC: D3B040A8 1EA25978
	v_pk_fma_f32 v[170:171], v[122:123], v[44:45], v[170:171]  // 0000000045B4: D3B040AA 1EAA597A
	v_mul_f32_dpp v44, v22, v20 row_newbcast:6 row_mask:0xf bank_mask:0xf// 0000000045BC: 0A5828FA FF015616
	v_mov_b32_e32 v45, v44                                     // 0000000045C4: 7E5A032C
	v_pk_fma_f32 v[176:177], v[128:129], v[44:45], v[176:177]  // 0000000045C8: D3B040B0 1EC25980
	v_pk_fma_f32 v[178:179], v[130:131], v[44:45], v[178:179]  // 0000000045D0: D3B040B2 1ECA5982
	v_pk_fma_f32 v[184:185], v[136:137], v[44:45], v[184:185]  // 0000000045D8: D3B040B8 1EE25988
	v_pk_fma_f32 v[186:187], v[138:139], v[44:45], v[186:187]  // 0000000045E0: D3B040BA 1EEA598A
	v_mul_f32_dpp v44, v22, v21 row_newbcast:4 row_mask:0xf bank_mask:0xf// 0000000045E8: 0A582AFA FF015416
	v_mov_b32_e32 v45, v44                                     // 0000000045F0: 7E5A032C
	v_pk_fma_f32 v[148:149], v[100:101], v[44:45], v[148:149]  // 0000000045F4: D3B04094 1E525964
	v_pk_fma_f32 v[150:151], v[102:103], v[44:45], v[150:151]  // 0000000045FC: D3B04096 1E5A5966
	v_pk_fma_f32 v[156:157], v[108:109], v[44:45], v[156:157]  // 000000004604: D3B0409C 1E72596C
	v_pk_fma_f32 v[158:159], v[110:111], v[44:45], v[158:159]  // 00000000460C: D3B0409E 1E7A596E
	v_mul_f32_dpp v44, v22, v21 row_newbcast:5 row_mask:0xf bank_mask:0xf// 000000004614: 0A582AFA FF015516
	v_mov_b32_e32 v45, v44                                     // 00000000461C: 7E5A032C
	v_pk_fma_f32 v[164:165], v[116:117], v[44:45], v[164:165]  // 000000004620: D3B040A4 1E925974
	v_pk_fma_f32 v[166:167], v[118:119], v[44:45], v[166:167]  // 000000004628: D3B040A6 1E9A5976
	v_pk_fma_f32 v[172:173], v[124:125], v[44:45], v[172:173]  // 000000004630: D3B040AC 1EB2597C
	v_pk_fma_f32 v[174:175], v[126:127], v[44:45], v[174:175]  // 000000004638: D3B040AE 1EBA597E
	v_mul_f32_dpp v44, v22, v21 row_newbcast:6 row_mask:0xf bank_mask:0xf// 000000004640: 0A582AFA FF015616
	v_mov_b32_e32 v45, v44                                     // 000000004648: 7E5A032C
	v_pk_fma_f32 v[180:181], v[132:133], v[44:45], v[180:181]  // 00000000464C: D3B040B4 1ED25984
	v_pk_fma_f32 v[182:183], v[134:135], v[44:45], v[182:183]  // 000000004654: D3B040B6 1EDA5986
	v_pk_fma_f32 v[188:189], v[140:141], v[44:45], v[188:189]  // 00000000465C: D3B040BC 1EF2598C
	v_pk_fma_f32 v[190:191], v[142:143], v[44:45], v[190:191]  // 000000004664: D3B040BE 1EFA598E
	s_add_u32 s60, 0x100, s80                                  // 00000000466C: 803C50FF 00000100
	s_cmp_lt_u32 s60, s81                                      // 000000004674: BF0A513C
	s_cselect_b32 s4, s4, 0                                    // 000000004678: 85048004
	s_add_u32 s32, s4, s32                                     // 00000000467C: 80202004
	s_addc_u32 s33, 0, s33                                     // 000000004680: 82212180
	s_waitcnt vmcnt(20)                                        // 000000004684: BF8C4F74
	s_barrier                                                  // 000000004688: BF8A0000
	v_mfma_f32_16x16x128_f8f6f4 v[96:99], a[96:103], v[224:231], 0// 00000000468C: D3AD0060 0A03C160
	v_mfma_f32_16x16x128_f8f6f4 v[100:103], a[96:103], v[240:247], 0// 000000004694: D3AD0064 0A03E160
	buffer_load_dwordx4 a[0:3], v34, s[24:27], 0 offen         // 00000000469C: E05C1000 80860022
	buffer_load_dwordx4 a[4:7], v34, s[24:27], 0 offen offset:1024// 0000000046A4: E05C1400 80860422
	buffer_load_dword v22, v10, s[32:35], 0 offen              // 0000000046AC: E0501000 8008160A
	v_mfma_f32_16x16x128_f8f6f4 v[104:107], a[104:111], v[224:231], 0// 0000000046B4: D3AD0068 0A03C168
	v_mfma_f32_16x16x128_f8f6f4 v[108:111], a[104:111], v[240:247], 0// 0000000046BC: D3AD006C 0A03E168
	buffer_load_dwordx4 a[8:11], v35, s[24:27], 0 offen        // 0000000046C4: E05C1000 80860823
	buffer_load_dwordx4 a[12:15], v35, s[24:27], 0 offen offset:1024// 0000000046CC: E05C1400 80860C23
	s_waitcnt vmcnt(21)                                        // 0000000046D4: BF8C4F75
	v_mfma_f32_16x16x128_f8f6f4 v[112:115], a[112:119], v[224:231], 0// 0000000046D8: D3AD0070 0A03C170
	v_mfma_f32_16x16x128_f8f6f4 v[116:119], a[112:119], v[240:247], 0// 0000000046E0: D3AD0074 0A03E170
	buffer_load_dwordx4 a[16:19], v36, s[24:27], 0 offen       // 0000000046E8: E05C1000 80861024
	buffer_load_dwordx4 a[20:23], v36, s[24:27], 0 offen offset:1024// 0000000046F0: E05C1400 80861424
	v_mfma_f32_16x16x128_f8f6f4 v[120:123], a[120:127], v[224:231], 0// 0000000046F8: D3AD0078 0A03C178
	v_mfma_f32_16x16x128_f8f6f4 v[124:127], a[120:127], v[240:247], 0// 000000004700: D3AD007C 0A03E178
	buffer_load_dwordx4 a[24:27], v37, s[24:27], 0 offen       // 000000004708: E05C1000 80861825
	buffer_load_dwordx4 a[28:31], v37, s[24:27], 0 offen offset:1024// 000000004710: E05C1400 80861C25
	s_waitcnt vmcnt(21)                                        // 000000004718: BF8C4F75
	v_mfma_f32_16x16x128_f8f6f4 v[128:131], a[128:135], v[224:231], 0// 00000000471C: D3AD0080 0A03C180
	v_mfma_f32_16x16x128_f8f6f4 v[132:135], a[128:135], v[240:247], 0// 000000004724: D3AD0084 0A03E180
	buffer_load_dwordx4 a[32:35], v38, s[24:27], 0 offen       // 00000000472C: E05C1000 80862026
	buffer_load_dwordx4 a[36:39], v38, s[24:27], 0 offen offset:1024// 000000004734: E05C1400 80862426
	v_mfma_f32_16x16x128_f8f6f4 v[136:139], a[136:143], v[224:231], 0// 00000000473C: D3AD0088 0A03C188
	v_mfma_f32_16x16x128_f8f6f4 v[140:143], a[136:143], v[240:247], 0// 000000004744: D3AD008C 0A03E188
	buffer_load_dwordx4 a[40:43], v39, s[24:27], 0 offen       // 00000000474C: E05C1000 80862827
	buffer_load_dwordx4 a[44:47], v39, s[24:27], 0 offen offset:1024// 000000004754: E05C1400 80862C27
	v_mul_f32_dpp v44, v23, v18 row_newbcast:0 row_mask:0xf bank_mask:0xf// 00000000475C: 0A5824FA FF015017
	v_mov_b32_e32 v45, v44                                     // 000000004764: 7E5A032C
	v_pk_fma_f32 v[48:49], v[96:97], v[44:45], v[48:49]        // 000000004768: D3B04030 1CC25960
	v_pk_fma_f32 v[50:51], v[98:99], v[44:45], v[50:51]        // 000000004770: D3B04032 1CCA5962
	v_pk_fma_f32 v[56:57], v[104:105], v[44:45], v[56:57]      // 000000004778: D3B04038 1CE25968
	v_pk_fma_f32 v[58:59], v[106:107], v[44:45], v[58:59]      // 000000004780: D3B0403A 1CEA596A
	v_mul_f32_dpp v44, v23, v18 row_newbcast:1 row_mask:0xf bank_mask:0xf// 000000004788: 0A5824FA FF015117
	v_mov_b32_e32 v45, v44                                     // 000000004790: 7E5A032C
	v_pk_fma_f32 v[64:65], v[112:113], v[44:45], v[64:65]      // 000000004794: D3B04040 1D025970
	v_pk_fma_f32 v[66:67], v[114:115], v[44:45], v[66:67]      // 00000000479C: D3B04042 1D0A5972
	v_pk_fma_f32 v[72:73], v[120:121], v[44:45], v[72:73]      // 0000000047A4: D3B04048 1D225978
	v_pk_fma_f32 v[74:75], v[122:123], v[44:45], v[74:75]      // 0000000047AC: D3B0404A 1D2A597A
	v_mul_f32_dpp v44, v23, v18 row_newbcast:2 row_mask:0xf bank_mask:0xf// 0000000047B4: 0A5824FA FF015217
	v_mov_b32_e32 v45, v44                                     // 0000000047BC: 7E5A032C
	v_pk_fma_f32 v[80:81], v[128:129], v[44:45], v[80:81]      // 0000000047C0: D3B04050 1D425980
	v_pk_fma_f32 v[82:83], v[130:131], v[44:45], v[82:83]      // 0000000047C8: D3B04052 1D4A5982
	v_pk_fma_f32 v[88:89], v[136:137], v[44:45], v[88:89]      // 0000000047D0: D3B04058 1D625988
	v_pk_fma_f32 v[90:91], v[138:139], v[44:45], v[90:91]      // 0000000047D8: D3B0405A 1D6A598A
	v_mul_f32_dpp v44, v23, v19 row_newbcast:0 row_mask:0xf bank_mask:0xf// 0000000047E0: 0A5826FA FF015017
	v_mov_b32_e32 v45, v44                                     // 0000000047E8: 7E5A032C
	v_pk_fma_f32 v[52:53], v[100:101], v[44:45], v[52:53]      // 0000000047EC: D3B04034 1CD25964
	v_pk_fma_f32 v[54:55], v[102:103], v[44:45], v[54:55]      // 0000000047F4: D3B04036 1CDA5966
	v_pk_fma_f32 v[60:61], v[108:109], v[44:45], v[60:61]      // 0000000047FC: D3B0403C 1CF2596C
	v_pk_fma_f32 v[62:63], v[110:111], v[44:45], v[62:63]      // 000000004804: D3B0403E 1CFA596E
	v_mul_f32_dpp v44, v23, v19 row_newbcast:1 row_mask:0xf bank_mask:0xf// 00000000480C: 0A5826FA FF015117
	v_mov_b32_e32 v45, v44                                     // 000000004814: 7E5A032C
	v_pk_fma_f32 v[68:69], v[116:117], v[44:45], v[68:69]      // 000000004818: D3B04044 1D125974
	v_pk_fma_f32 v[70:71], v[118:119], v[44:45], v[70:71]      // 000000004820: D3B04046 1D1A5976
	v_pk_fma_f32 v[76:77], v[124:125], v[44:45], v[76:77]      // 000000004828: D3B0404C 1D32597C
	v_pk_fma_f32 v[78:79], v[126:127], v[44:45], v[78:79]      // 000000004830: D3B0404E 1D3A597E
	v_mul_f32_dpp v44, v23, v19 row_newbcast:2 row_mask:0xf bank_mask:0xf// 000000004838: 0A5826FA FF015217
	v_mov_b32_e32 v45, v44                                     // 000000004840: 7E5A032C
	v_pk_fma_f32 v[84:85], v[132:133], v[44:45], v[84:85]      // 000000004844: D3B04054 1D525984
	v_pk_fma_f32 v[86:87], v[134:135], v[44:45], v[86:87]      // 00000000484C: D3B04056 1D5A5986
	v_pk_fma_f32 v[92:93], v[140:141], v[44:45], v[92:93]      // 000000004854: D3B0405C 1D72598C
	v_pk_fma_f32 v[94:95], v[142:143], v[44:45], v[94:95]      // 00000000485C: D3B0405E 1D7A598E
	s_waitcnt vmcnt(21)                                        // 000000004864: BF8C4F75
	v_mfma_f32_16x16x128_f8f6f4 v[96:99], a[144:151], v[232:239], 0// 000000004868: D3AD0060 0A03D190
	ds_read_b128 v[192:195], v1                                // 000000004870: D9FE0000 C0000001
	ds_read_b128 v[196:199], v1 offset:64                      // 000000004878: D9FE0040 C4000001
	ds_read_b32 v14, v2 offset:8448                            // 000000004880: D86C2100 0E000002
	v_mfma_f32_16x16x128_f8f6f4 v[100:103], a[144:151], v[248:255], 0// 000000004888: D3AD0064 0A03F190
	buffer_load_dwordx4 a[48:51], v34, s[24:27], 0 offen offset:2048// 000000004890: E05C1800 80863022
	buffer_load_dwordx4 a[52:55], v34, s[24:27], 0 offen offset:3072// 000000004898: E05C1C00 80863422
	v_mfma_f32_16x16x128_f8f6f4 v[104:107], a[152:159], v[232:239], 0// 0000000048A0: D3AD0068 0A03D198
	ds_read_b128 v[200:203], v1 offset:4224                    // 0000000048A8: D9FE1080 C8000001
	ds_read_b128 v[204:207], v1 offset:4288                    // 0000000048B0: D9FE10C0 CC000001
	ds_read_b32 v15, v2 offset:8704                            // 0000000048B8: D86C2200 0F000002
	v_mfma_f32_16x16x128_f8f6f4 v[108:111], a[152:159], v[248:255], 0// 0000000048C0: D3AD006C 0A03F198
	buffer_load_dwordx4 a[56:59], v35, s[24:27], 0 offen offset:2048// 0000000048C8: E05C1800 80863823
	buffer_load_dwordx4 a[60:63], v35, s[24:27], 0 offen offset:3072// 0000000048D0: E05C1C00 80863C23
	s_waitcnt vmcnt(21)                                        // 0000000048D8: BF8C4F75
	v_mfma_f32_16x16x128_f8f6f4 v[112:115], a[160:167], v[232:239], 0// 0000000048DC: D3AD0070 0A03D1A0
	ds_read_b128 v[208:211], v1 offset:512                     // 0000000048E4: D9FE0200 D0000001
	ds_read_b128 v[212:215], v1 offset:576                     // 0000000048EC: D9FE0240 D4000001
	ds_read_b32 v16, v2 offset:8960                            // 0000000048F4: D86C2300 10000002
	v_mfma_f32_16x16x128_f8f6f4 v[116:119], a[160:167], v[248:255], 0// 0000000048FC: D3AD0074 0A03F1A0
	buffer_load_dwordx4 a[64:67], v36, s[24:27], 0 offen offset:2048// 000000004904: E05C1800 80864024
	buffer_load_dwordx4 a[68:71], v36, s[24:27], 0 offen offset:3072// 00000000490C: E05C1C00 80864424
	v_mfma_f32_16x16x128_f8f6f4 v[120:123], a[168:175], v[232:239], 0// 000000004914: D3AD0078 0A03D1A8
	ds_read_b128 v[216:219], v1 offset:4736                    // 00000000491C: D9FE1280 D8000001
	ds_read_b128 v[220:223], v1 offset:4800                    // 000000004924: D9FE12C0 DC000001
	ds_read_b32 v17, v2 offset:9216                            // 00000000492C: D86C2400 11000002
	v_mfma_f32_16x16x128_f8f6f4 v[124:127], a[168:175], v[248:255], 0// 000000004934: D3AD007C 0A03F1A8
	buffer_load_dwordx4 a[72:75], v37, s[24:27], 0 offen offset:2048// 00000000493C: E05C1800 80864825
	buffer_load_dwordx4 a[76:79], v37, s[24:27], 0 offen offset:3072// 000000004944: E05C1C00 80864C25
	s_waitcnt vmcnt(21)                                        // 00000000494C: BF8C4F75
	v_mfma_f32_16x16x128_f8f6f4 v[128:131], a[176:183], v[232:239], 0// 000000004950: D3AD0080 0A03D1B0
	v_mfma_f32_16x16x128_f8f6f4 v[132:135], a[176:183], v[248:255], 0// 000000004958: D3AD0084 0A03F1B0
	buffer_load_dwordx4 a[80:83], v38, s[24:27], 0 offen offset:2048// 000000004960: E05C1800 80865026
	buffer_load_dwordx4 a[84:87], v38, s[24:27], 0 offen offset:3072// 000000004968: E05C1C00 80865426
	v_mfma_f32_16x16x128_f8f6f4 v[136:139], a[184:191], v[232:239], 0// 000000004970: D3AD0088 0A03D1B8
	v_mfma_f32_16x16x128_f8f6f4 v[140:143], a[184:191], v[248:255], 0// 000000004978: D3AD008C 0A03F1B8
	buffer_load_dwordx4 a[88:91], v39, s[24:27], 0 offen offset:2048// 000000004980: E05C1800 80865827
	buffer_load_dwordx4 a[92:95], v39, s[24:27], 0 offen offset:3072// 000000004988: E05C1C00 80865C27
	v_mul_f32_dpp v44, v23, v20 row_newbcast:4 row_mask:0xf bank_mask:0xf// 000000004990: 0A5828FA FF015417
	v_mov_b32_e32 v45, v44                                     // 000000004998: 7E5A032C
	v_pk_fma_f32 v[48:49], v[96:97], v[44:45], v[48:49]        // 00000000499C: D3B04030 1CC25960
	v_pk_fma_f32 v[50:51], v[98:99], v[44:45], v[50:51]        // 0000000049A4: D3B04032 1CCA5962
	v_pk_fma_f32 v[56:57], v[104:105], v[44:45], v[56:57]      // 0000000049AC: D3B04038 1CE25968
	v_pk_fma_f32 v[58:59], v[106:107], v[44:45], v[58:59]      // 0000000049B4: D3B0403A 1CEA596A
	v_mul_f32_dpp v44, v23, v20 row_newbcast:5 row_mask:0xf bank_mask:0xf// 0000000049BC: 0A5828FA FF015517
	v_mov_b32_e32 v45, v44                                     // 0000000049C4: 7E5A032C
	v_pk_fma_f32 v[64:65], v[112:113], v[44:45], v[64:65]      // 0000000049C8: D3B04040 1D025970
	v_pk_fma_f32 v[66:67], v[114:115], v[44:45], v[66:67]      // 0000000049D0: D3B04042 1D0A5972
	v_pk_fma_f32 v[72:73], v[120:121], v[44:45], v[72:73]      // 0000000049D8: D3B04048 1D225978
	v_pk_fma_f32 v[74:75], v[122:123], v[44:45], v[74:75]      // 0000000049E0: D3B0404A 1D2A597A
	v_mul_f32_dpp v44, v23, v20 row_newbcast:6 row_mask:0xf bank_mask:0xf// 0000000049E8: 0A5828FA FF015617
	v_mov_b32_e32 v45, v44                                     // 0000000049F0: 7E5A032C
	v_pk_fma_f32 v[80:81], v[128:129], v[44:45], v[80:81]      // 0000000049F4: D3B04050 1D425980
	v_pk_fma_f32 v[82:83], v[130:131], v[44:45], v[82:83]      // 0000000049FC: D3B04052 1D4A5982
	v_pk_fma_f32 v[88:89], v[136:137], v[44:45], v[88:89]      // 000000004A04: D3B04058 1D625988
	v_pk_fma_f32 v[90:91], v[138:139], v[44:45], v[90:91]      // 000000004A0C: D3B0405A 1D6A598A
	v_mul_f32_dpp v44, v23, v21 row_newbcast:4 row_mask:0xf bank_mask:0xf// 000000004A14: 0A582AFA FF015417
	v_mov_b32_e32 v45, v44                                     // 000000004A1C: 7E5A032C
	v_pk_fma_f32 v[52:53], v[100:101], v[44:45], v[52:53]      // 000000004A20: D3B04034 1CD25964
	v_pk_fma_f32 v[54:55], v[102:103], v[44:45], v[54:55]      // 000000004A28: D3B04036 1CDA5966
	v_pk_fma_f32 v[60:61], v[108:109], v[44:45], v[60:61]      // 000000004A30: D3B0403C 1CF2596C
	v_pk_fma_f32 v[62:63], v[110:111], v[44:45], v[62:63]      // 000000004A38: D3B0403E 1CFA596E
	v_mul_f32_dpp v44, v23, v21 row_newbcast:5 row_mask:0xf bank_mask:0xf// 000000004A40: 0A582AFA FF015517
	v_mov_b32_e32 v45, v44                                     // 000000004A48: 7E5A032C
	v_pk_fma_f32 v[68:69], v[116:117], v[44:45], v[68:69]      // 000000004A4C: D3B04044 1D125974
	v_pk_fma_f32 v[70:71], v[118:119], v[44:45], v[70:71]      // 000000004A54: D3B04046 1D1A5976
	v_pk_fma_f32 v[76:77], v[124:125], v[44:45], v[76:77]      // 000000004A5C: D3B0404C 1D32597C
	v_pk_fma_f32 v[78:79], v[126:127], v[44:45], v[78:79]      // 000000004A64: D3B0404E 1D3A597E
	v_mul_f32_dpp v44, v23, v21 row_newbcast:6 row_mask:0xf bank_mask:0xf// 000000004A6C: 0A582AFA FF015617
	v_mov_b32_e32 v45, v44                                     // 000000004A74: 7E5A032C
	v_pk_fma_f32 v[84:85], v[132:133], v[44:45], v[84:85]      // 000000004A78: D3B04054 1D525984
	v_pk_fma_f32 v[86:87], v[134:135], v[44:45], v[86:87]      // 000000004A80: D3B04056 1D5A5986
	v_pk_fma_f32 v[92:93], v[140:141], v[44:45], v[92:93]      // 000000004A88: D3B0405C 1D72598C
	v_pk_fma_f32 v[94:95], v[142:143], v[44:45], v[94:95]      // 000000004A90: D3B0405E 1D7A598E
	s_add_u32 s60, 0x200, s80                                  // 000000004A98: 803C50FF 00000200
	s_cmp_lt_u32 s60, s81                                      // 000000004AA0: BF0A513C
	s_cselect_b32 s57, s57, 0                                  // 000000004AA4: 85398039
	s_cselect_b32 s3, s3, 0                                    // 000000004AA8: 85038003
	s_add_u32 s60, 0x200, s80                                  // 000000004AAC: 803C50FF 00000200
	s_cmp_lt_u32 s60, s81                                      // 000000004AB4: BF0A513C
	s_cselect_b32 s58, s58, 0                                  // 000000004AB8: 853A803A
	s_add_u32 s20, s57, s20                                    // 000000004ABC: 80141439
	s_addc_u32 s21, 0, s21                                     // 000000004AC0: 82151580
	s_add_u32 s28, s3, s28                                     // 000000004AC4: 801C1C03
	s_addc_u32 s29, 0, s29                                     // 000000004AC8: 821D1D80
	s_add_u32 s24, s58, s24                                    // 000000004ACC: 8018183A
	s_addc_u32 s25, 0, s25                                     // 000000004AD0: 82191980
	s_add_u32 s92, s90, s92                                    // 000000004AD4: 805C5C5A
	s_addc_u32 s93, 0, s93                                     // 000000004AD8: 825D5D80
	s_addk_i32 s80, 0x100                                      // 000000004ADC: B7500100
	s_cmp_lt_i32 s80, s81                                      // 000000004AE0: BF045150
	s_cbranch_scc0 label_073B                                  // 000000004AE4: BF840001
	s_branch label_030E                                        // 000000004AE8: BF82FBD3

0000000000004aec <label_073B>:
	s_mov_b32 s20, 0                                           // 000000004AEC: BE940080
	s_cmp_lt_u32 s89, s66                                      // 000000004AF0: BF0A4259
	s_cselect_b32 s60, 0, 1                                    // 000000004AF4: 853C8180
	s_lshl1_add_u32 s20, s20, s60                              // 000000004AF8: 97143C14
	s_cmp_lt_u32 s88, s66                                      // 000000004AFC: BF0A4258
	s_cselect_b32 s60, 0, 1                                    // 000000004B00: 853C8180
	s_lshl1_add_u32 s20, s20, s60                              // 000000004B04: 97143C14
	s_cmp_lt_u32 s87, s66                                      // 000000004B08: BF0A4257
	s_cselect_b32 s60, 0, 1                                    // 000000004B0C: 853C8180
	s_lshl1_add_u32 s20, s20, s60                              // 000000004B10: 97143C14
	s_cmp_lt_u32 s86, s66                                      // 000000004B14: BF0A4256
	s_cselect_b32 s60, 0, 1                                    // 000000004B18: 853C8180
	s_lshl1_add_u32 s20, s20, s60                              // 000000004B1C: 97143C14
	s_cmp_lt_u32 s85, s66                                      // 000000004B20: BF0A4255
	s_cselect_b32 s60, 0, 1                                    // 000000004B24: 853C8180
	s_lshl1_add_u32 s20, s20, s60                              // 000000004B28: 97143C14
	s_cmp_lt_u32 s84, s66                                      // 000000004B2C: BF0A4254
	s_cselect_b32 s60, 0, 1                                    // 000000004B30: 853C8180
	s_lshl1_add_u32 s20, s20, s60                              // 000000004B34: 97143C14
	s_cmp_lt_u32 s83, s66                                      // 000000004B38: BF0A4253
	s_cselect_b32 s60, 0, 1                                    // 000000004B3C: 853C8180
	s_lshl1_add_u32 s20, s20, s60                              // 000000004B40: 97143C14
	s_cmp_lt_u32 s82, s66                                      // 000000004B44: BF0A4252
	s_cselect_b32 s60, 0, 1                                    // 000000004B48: 853C8180
	s_lshl1_add_u32 s20, s20, s60                              // 000000004B4C: 97143C14
	v_mov_b32_e32 v96, 0xbfcc4231                              // 000000004B50: 7EC002FF BFCC4231
	s_waitcnt vmcnt(20)                                        // 000000004B58: BF8C4F74
	buffer_load_dwordx4 a[0:3], v40, s[12:15], 0 offen         // 000000004B5C: E05C1000 80830028
	v_mul_f32_e32 v44, v144, v144                              // 000000004B64: 0A592190
	v_mul_f32_e32 v45, v145, v145                              // 000000004B68: 0A5B2391
	v_mul_f32_e32 v46, v146, v146                              // 000000004B6C: 0A5D2592
	v_mul_f32_e32 v47, v147, v147                              // 000000004B70: 0A5F2793
	v_fma_f32 v44, v44, s77, v96                               // 000000004B74: D1CB002C 05809B2C
	v_fma_f32 v45, v45, s77, v96                               // 000000004B7C: D1CB002D 05809B2D
	v_fma_f32 v46, v46, s77, v96                               // 000000004B84: D1CB002E 05809B2E
	v_fma_f32 v47, v47, s77, v96                               // 000000004B8C: D1CB002F 05809B2F
	v_mul_f32_e32 v44, v44, v144                               // 000000004B94: 0A59212C
	v_mul_f32_e32 v45, v45, v145                               // 000000004B98: 0A5B232D
	v_mul_f32_e32 v46, v46, v146                               // 000000004B9C: 0A5D252E
	v_mul_f32_e32 v47, v47, v147                               // 000000004BA0: 0A5F272F
	v_mul_f32_e64 v44, v44, s6                                 // 000000004BA4: D105002C 00000D2C
	v_mul_f32_e64 v45, v45, s6                                 // 000000004BAC: D105002D 00000D2D
	v_mul_f32_e64 v46, v46, s6                                 // 000000004BB4: D105002E 00000D2E
	v_mul_f32_e64 v47, v47, s6                                 // 000000004BBC: D105002F 00000D2F
	v_exp_f32_e32 v44, v44                                     // 000000004BC4: 7E58412C
	v_exp_f32_e32 v45, v45                                     // 000000004BC8: 7E5A412D
	v_exp_f32_e32 v46, v46                                     // 000000004BCC: 7E5C412E
	v_exp_f32_e32 v47, v47                                     // 000000004BD0: 7E5E412F
	buffer_load_dwordx4 a[4:7], v40, s[12:15], 0 offen offset:1024// 000000004BD4: E05C1400 80830428
	v_add_f32_e64 v44, v44, 1.0                                // 000000004BDC: D101002C 0001E52C
	v_add_f32_e64 v45, v45, 1.0                                // 000000004BE4: D101002D 0001E52D
	v_add_f32_e64 v46, v46, 1.0                                // 000000004BEC: D101002E 0001E52E
	v_add_f32_e64 v47, v47, 1.0                                // 000000004BF4: D101002F 0001E52F
	v_rcp_f32_e32 v44, v44                                     // 000000004BFC: 7E58452C
	v_rcp_f32_e32 v45, v45                                     // 000000004C00: 7E5A452D
	v_rcp_f32_e32 v46, v46                                     // 000000004C04: 7E5C452E
	v_rcp_f32_e32 v47, v47                                     // 000000004C08: 7E5E452F
	v_mul_f32_e32 v144, v144, v44                              // 000000004C0C: 0B205990
	v_mul_f32_e32 v145, v145, v45                              // 000000004C10: 0B225B91
	v_mul_f32_e32 v146, v146, v46                              // 000000004C14: 0B245D92
	v_mul_f32_e32 v147, v147, v47                              // 000000004C18: 0B265F93
	v_mul_f32_e32 v144, v144, v48                              // 000000004C1C: 0B206190
	v_mul_f32_e32 v145, v145, v49                              // 000000004C20: 0B226391
	v_mul_f32_e32 v146, v146, v50                              // 000000004C24: 0B246592
	v_mul_f32_e32 v147, v147, v51                              // 000000004C28: 0B266793
	buffer_load_dwordx4 a[8:11], v41, s[12:15], 0 offen        // 000000004C2C: E05C1000 80830829
	v_mul_f32_e32 v44, v148, v148                              // 000000004C34: 0A592994
	v_mul_f32_e32 v45, v149, v149                              // 000000004C38: 0A5B2B95
	v_mul_f32_e32 v46, v150, v150                              // 000000004C3C: 0A5D2D96
	v_mul_f32_e32 v47, v151, v151                              // 000000004C40: 0A5F2F97
	v_fma_f32 v44, v44, s77, v96                               // 000000004C44: D1CB002C 05809B2C
	v_fma_f32 v45, v45, s77, v96                               // 000000004C4C: D1CB002D 05809B2D
	v_fma_f32 v46, v46, s77, v96                               // 000000004C54: D1CB002E 05809B2E
	v_fma_f32 v47, v47, s77, v96                               // 000000004C5C: D1CB002F 05809B2F
	v_mul_f32_e32 v44, v44, v148                               // 000000004C64: 0A59292C
	v_mul_f32_e32 v45, v45, v149                               // 000000004C68: 0A5B2B2D
	v_mul_f32_e32 v46, v46, v150                               // 000000004C6C: 0A5D2D2E
	v_mul_f32_e32 v47, v47, v151                               // 000000004C70: 0A5F2F2F
	v_mul_f32_e64 v44, v44, s6                                 // 000000004C74: D105002C 00000D2C
	v_mul_f32_e64 v45, v45, s6                                 // 000000004C7C: D105002D 00000D2D
	v_mul_f32_e64 v46, v46, s6                                 // 000000004C84: D105002E 00000D2E
	v_mul_f32_e64 v47, v47, s6                                 // 000000004C8C: D105002F 00000D2F
	v_exp_f32_e32 v44, v44                                     // 000000004C94: 7E58412C
	v_exp_f32_e32 v45, v45                                     // 000000004C98: 7E5A412D
	v_exp_f32_e32 v46, v46                                     // 000000004C9C: 7E5C412E
	v_exp_f32_e32 v47, v47                                     // 000000004CA0: 7E5E412F
	buffer_load_dwordx4 a[12:15], v41, s[12:15], 0 offen offset:1024// 000000004CA4: E05C1400 80830C29
	v_add_f32_e64 v44, v44, 1.0                                // 000000004CAC: D101002C 0001E52C
	v_add_f32_e64 v45, v45, 1.0                                // 000000004CB4: D101002D 0001E52D
	v_add_f32_e64 v46, v46, 1.0                                // 000000004CBC: D101002E 0001E52E
	v_add_f32_e64 v47, v47, 1.0                                // 000000004CC4: D101002F 0001E52F
	v_rcp_f32_e32 v44, v44                                     // 000000004CCC: 7E58452C
	v_rcp_f32_e32 v45, v45                                     // 000000004CD0: 7E5A452D
	v_rcp_f32_e32 v46, v46                                     // 000000004CD4: 7E5C452E
	v_rcp_f32_e32 v47, v47                                     // 000000004CD8: 7E5E452F
	v_mul_f32_e32 v148, v148, v44                              // 000000004CDC: 0B285994
	v_mul_f32_e32 v149, v149, v45                              // 000000004CE0: 0B2A5B95
	v_mul_f32_e32 v150, v150, v46                              // 000000004CE4: 0B2C5D96
	v_mul_f32_e32 v151, v151, v47                              // 000000004CE8: 0B2E5F97
	v_mul_f32_e32 v148, v148, v52                              // 000000004CEC: 0B286994
	v_mul_f32_e32 v149, v149, v53                              // 000000004CF0: 0B2A6B95
	v_mul_f32_e32 v150, v150, v54                              // 000000004CF4: 0B2C6D96
	v_mul_f32_e32 v151, v151, v55                              // 000000004CF8: 0B2E6F97
	s_waitcnt vmcnt(20)                                        // 000000004CFC: BF8C4F74
	buffer_load_dwordx4 a[16:19], v42, s[12:15], 0 offen       // 000000004D00: E05C1000 8083102A
	v_mul_f32_e32 v44, v152, v152                              // 000000004D08: 0A593198
	v_mul_f32_e32 v45, v153, v153                              // 000000004D0C: 0A5B3399
	v_mul_f32_e32 v46, v154, v154                              // 000000004D10: 0A5D359A
	v_mul_f32_e32 v47, v155, v155                              // 000000004D14: 0A5F379B
	v_fma_f32 v44, v44, s77, v96                               // 000000004D18: D1CB002C 05809B2C
	v_fma_f32 v45, v45, s77, v96                               // 000000004D20: D1CB002D 05809B2D
	v_fma_f32 v46, v46, s77, v96                               // 000000004D28: D1CB002E 05809B2E
	v_fma_f32 v47, v47, s77, v96                               // 000000004D30: D1CB002F 05809B2F
	v_mul_f32_e32 v44, v44, v152                               // 000000004D38: 0A59312C
	v_mul_f32_e32 v45, v45, v153                               // 000000004D3C: 0A5B332D
	v_mul_f32_e32 v46, v46, v154                               // 000000004D40: 0A5D352E
	v_mul_f32_e32 v47, v47, v155                               // 000000004D44: 0A5F372F
	v_mul_f32_e64 v44, v44, s6                                 // 000000004D48: D105002C 00000D2C
	v_mul_f32_e64 v45, v45, s6                                 // 000000004D50: D105002D 00000D2D
	v_mul_f32_e64 v46, v46, s6                                 // 000000004D58: D105002E 00000D2E
	v_mul_f32_e64 v47, v47, s6                                 // 000000004D60: D105002F 00000D2F
	v_exp_f32_e32 v44, v44                                     // 000000004D68: 7E58412C
	v_exp_f32_e32 v45, v45                                     // 000000004D6C: 7E5A412D
	v_exp_f32_e32 v46, v46                                     // 000000004D70: 7E5C412E
	v_exp_f32_e32 v47, v47                                     // 000000004D74: 7E5E412F
	buffer_load_dwordx4 a[20:23], v42, s[12:15], 0 offen offset:1024// 000000004D78: E05C1400 8083142A
	v_add_f32_e64 v44, v44, 1.0                                // 000000004D80: D101002C 0001E52C
	v_add_f32_e64 v45, v45, 1.0                                // 000000004D88: D101002D 0001E52D
	v_add_f32_e64 v46, v46, 1.0                                // 000000004D90: D101002E 0001E52E
	v_add_f32_e64 v47, v47, 1.0                                // 000000004D98: D101002F 0001E52F
	v_rcp_f32_e32 v44, v44                                     // 000000004DA0: 7E58452C
	v_rcp_f32_e32 v45, v45                                     // 000000004DA4: 7E5A452D
	v_rcp_f32_e32 v46, v46                                     // 000000004DA8: 7E5C452E
	v_rcp_f32_e32 v47, v47                                     // 000000004DAC: 7E5E452F
	v_mul_f32_e32 v152, v152, v44                              // 000000004DB0: 0B305998
	v_mul_f32_e32 v153, v153, v45                              // 000000004DB4: 0B325B99
	v_mul_f32_e32 v154, v154, v46                              // 000000004DB8: 0B345D9A
	v_mul_f32_e32 v155, v155, v47                              // 000000004DBC: 0B365F9B
	v_mul_f32_e32 v152, v152, v56                              // 000000004DC0: 0B307198
	v_mul_f32_e32 v153, v153, v57                              // 000000004DC4: 0B327399
	v_mul_f32_e32 v154, v154, v58                              // 000000004DC8: 0B34759A
	v_mul_f32_e32 v155, v155, v59                              // 000000004DCC: 0B36779B
	buffer_load_dwordx4 a[24:27], v43, s[12:15], 0 offen       // 000000004DD0: E05C1000 8083182B
	v_mul_f32_e32 v44, v156, v156                              // 000000004DD8: 0A59399C
	v_mul_f32_e32 v45, v157, v157                              // 000000004DDC: 0A5B3B9D
	v_mul_f32_e32 v46, v158, v158                              // 000000004DE0: 0A5D3D9E
	v_mul_f32_e32 v47, v159, v159                              // 000000004DE4: 0A5F3F9F
	v_fma_f32 v44, v44, s77, v96                               // 000000004DE8: D1CB002C 05809B2C
	v_fma_f32 v45, v45, s77, v96                               // 000000004DF0: D1CB002D 05809B2D
	v_fma_f32 v46, v46, s77, v96                               // 000000004DF8: D1CB002E 05809B2E
	v_fma_f32 v47, v47, s77, v96                               // 000000004E00: D1CB002F 05809B2F
	v_mul_f32_e32 v44, v44, v156                               // 000000004E08: 0A59392C
	v_mul_f32_e32 v45, v45, v157                               // 000000004E0C: 0A5B3B2D
	v_mul_f32_e32 v46, v46, v158                               // 000000004E10: 0A5D3D2E
	v_mul_f32_e32 v47, v47, v159                               // 000000004E14: 0A5F3F2F
	v_mul_f32_e64 v44, v44, s6                                 // 000000004E18: D105002C 00000D2C
	v_mul_f32_e64 v45, v45, s6                                 // 000000004E20: D105002D 00000D2D
	v_mul_f32_e64 v46, v46, s6                                 // 000000004E28: D105002E 00000D2E
	v_mul_f32_e64 v47, v47, s6                                 // 000000004E30: D105002F 00000D2F
	v_exp_f32_e32 v44, v44                                     // 000000004E38: 7E58412C
	v_exp_f32_e32 v45, v45                                     // 000000004E3C: 7E5A412D
	v_exp_f32_e32 v46, v46                                     // 000000004E40: 7E5C412E
	v_exp_f32_e32 v47, v47                                     // 000000004E44: 7E5E412F
	buffer_load_dwordx4 a[28:31], v43, s[12:15], 0 offen offset:1024// 000000004E48: E05C1400 80831C2B
	s_add_u32 s12, s78, s12                                    // 000000004E50: 800C0C4E
	s_addc_u32 s13, 0, s13                                     // 000000004E54: 820D0D80
	v_add_f32_e64 v44, v44, 1.0                                // 000000004E58: D101002C 0001E52C
	v_add_f32_e64 v45, v45, 1.0                                // 000000004E60: D101002D 0001E52D
	v_add_f32_e64 v46, v46, 1.0                                // 000000004E68: D101002E 0001E52E
	v_add_f32_e64 v47, v47, 1.0                                // 000000004E70: D101002F 0001E52F
	v_rcp_f32_e32 v44, v44                                     // 000000004E78: 7E58452C
	v_rcp_f32_e32 v45, v45                                     // 000000004E7C: 7E5A452D
	v_rcp_f32_e32 v46, v46                                     // 000000004E80: 7E5C452E
	v_rcp_f32_e32 v47, v47                                     // 000000004E84: 7E5E452F
	v_mul_f32_e32 v156, v156, v44                              // 000000004E88: 0B38599C
	v_mul_f32_e32 v157, v157, v45                              // 000000004E8C: 0B3A5B9D
	v_mul_f32_e32 v158, v158, v46                              // 000000004E90: 0B3C5D9E
	v_mul_f32_e32 v159, v159, v47                              // 000000004E94: 0B3E5F9F
	v_mul_f32_e32 v156, v156, v60                              // 000000004E98: 0B38799C
	v_mul_f32_e32 v157, v157, v61                              // 000000004E9C: 0B3A7B9D
	v_mul_f32_e32 v158, v158, v62                              // 000000004EA0: 0B3C7D9E
	v_mul_f32_e32 v159, v159, v63                              // 000000004EA4: 0B3E7F9F
	s_waitcnt vmcnt(20)                                        // 000000004EA8: BF8C4F74
	buffer_load_dwordx4 a[32:35], v40, s[12:15], 0 offen       // 000000004EAC: E05C1000 80832028
	v_mul_f32_e32 v44, v160, v160                              // 000000004EB4: 0A5941A0
	v_mul_f32_e32 v45, v161, v161                              // 000000004EB8: 0A5B43A1
	v_mul_f32_e32 v46, v162, v162                              // 000000004EBC: 0A5D45A2
	v_mul_f32_e32 v47, v163, v163                              // 000000004EC0: 0A5F47A3
	v_fma_f32 v44, v44, s77, v96                               // 000000004EC4: D1CB002C 05809B2C
	v_fma_f32 v45, v45, s77, v96                               // 000000004ECC: D1CB002D 05809B2D
	v_fma_f32 v46, v46, s77, v96                               // 000000004ED4: D1CB002E 05809B2E
	v_fma_f32 v47, v47, s77, v96                               // 000000004EDC: D1CB002F 05809B2F
	v_mul_f32_e32 v44, v44, v160                               // 000000004EE4: 0A59412C
	v_mul_f32_e32 v45, v45, v161                               // 000000004EE8: 0A5B432D
	v_mul_f32_e32 v46, v46, v162                               // 000000004EEC: 0A5D452E
	v_mul_f32_e32 v47, v47, v163                               // 000000004EF0: 0A5F472F
	v_mul_f32_e64 v44, v44, s6                                 // 000000004EF4: D105002C 00000D2C
	v_mul_f32_e64 v45, v45, s6                                 // 000000004EFC: D105002D 00000D2D
	v_mul_f32_e64 v46, v46, s6                                 // 000000004F04: D105002E 00000D2E
	v_mul_f32_e64 v47, v47, s6                                 // 000000004F0C: D105002F 00000D2F
	v_exp_f32_e32 v44, v44                                     // 000000004F14: 7E58412C
	v_exp_f32_e32 v45, v45                                     // 000000004F18: 7E5A412D
	v_exp_f32_e32 v46, v46                                     // 000000004F1C: 7E5C412E
	v_exp_f32_e32 v47, v47                                     // 000000004F20: 7E5E412F
	buffer_load_dwordx4 a[36:39], v40, s[12:15], 0 offen offset:1024// 000000004F24: E05C1400 80832428
	v_add_f32_e64 v44, v44, 1.0                                // 000000004F2C: D101002C 0001E52C
	v_add_f32_e64 v45, v45, 1.0                                // 000000004F34: D101002D 0001E52D
	v_add_f32_e64 v46, v46, 1.0                                // 000000004F3C: D101002E 0001E52E
	v_add_f32_e64 v47, v47, 1.0                                // 000000004F44: D101002F 0001E52F
	v_rcp_f32_e32 v44, v44                                     // 000000004F4C: 7E58452C
	v_rcp_f32_e32 v45, v45                                     // 000000004F50: 7E5A452D
	v_rcp_f32_e32 v46, v46                                     // 000000004F54: 7E5C452E
	v_rcp_f32_e32 v47, v47                                     // 000000004F58: 7E5E452F
	v_mul_f32_e32 v160, v160, v44                              // 000000004F5C: 0B4059A0
	v_mul_f32_e32 v161, v161, v45                              // 000000004F60: 0B425BA1
	v_mul_f32_e32 v162, v162, v46                              // 000000004F64: 0B445DA2
	v_mul_f32_e32 v163, v163, v47                              // 000000004F68: 0B465FA3
	v_mul_f32_e32 v160, v160, v64                              // 000000004F6C: 0B4081A0
	v_mul_f32_e32 v161, v161, v65                              // 000000004F70: 0B4283A1
	v_mul_f32_e32 v162, v162, v66                              // 000000004F74: 0B4485A2
	v_mul_f32_e32 v163, v163, v67                              // 000000004F78: 0B4687A3
	buffer_load_dwordx4 a[40:43], v41, s[12:15], 0 offen       // 000000004F7C: E05C1000 80832829
	v_mul_f32_e32 v44, v164, v164                              // 000000004F84: 0A5949A4
	v_mul_f32_e32 v45, v165, v165                              // 000000004F88: 0A5B4BA5
	v_mul_f32_e32 v46, v166, v166                              // 000000004F8C: 0A5D4DA6
	v_mul_f32_e32 v47, v167, v167                              // 000000004F90: 0A5F4FA7
	v_fma_f32 v44, v44, s77, v96                               // 000000004F94: D1CB002C 05809B2C
	v_fma_f32 v45, v45, s77, v96                               // 000000004F9C: D1CB002D 05809B2D
	v_fma_f32 v46, v46, s77, v96                               // 000000004FA4: D1CB002E 05809B2E
	v_fma_f32 v47, v47, s77, v96                               // 000000004FAC: D1CB002F 05809B2F
	v_mul_f32_e32 v44, v44, v164                               // 000000004FB4: 0A59492C
	v_mul_f32_e32 v45, v45, v165                               // 000000004FB8: 0A5B4B2D
	v_mul_f32_e32 v46, v46, v166                               // 000000004FBC: 0A5D4D2E
	v_mul_f32_e32 v47, v47, v167                               // 000000004FC0: 0A5F4F2F
	v_mul_f32_e64 v44, v44, s6                                 // 000000004FC4: D105002C 00000D2C
	v_mul_f32_e64 v45, v45, s6                                 // 000000004FCC: D105002D 00000D2D
	v_mul_f32_e64 v46, v46, s6                                 // 000000004FD4: D105002E 00000D2E
	v_mul_f32_e64 v47, v47, s6                                 // 000000004FDC: D105002F 00000D2F
	v_exp_f32_e32 v44, v44                                     // 000000004FE4: 7E58412C
	v_exp_f32_e32 v45, v45                                     // 000000004FE8: 7E5A412D
	v_exp_f32_e32 v46, v46                                     // 000000004FEC: 7E5C412E
	v_exp_f32_e32 v47, v47                                     // 000000004FF0: 7E5E412F
	buffer_load_dwordx4 a[44:47], v41, s[12:15], 0 offen offset:1024// 000000004FF4: E05C1400 80832C29
	v_add_f32_e64 v44, v44, 1.0                                // 000000004FFC: D101002C 0001E52C
	v_add_f32_e64 v45, v45, 1.0                                // 000000005004: D101002D 0001E52D
	v_add_f32_e64 v46, v46, 1.0                                // 00000000500C: D101002E 0001E52E
	v_add_f32_e64 v47, v47, 1.0                                // 000000005014: D101002F 0001E52F
	v_rcp_f32_e32 v44, v44                                     // 00000000501C: 7E58452C
	v_rcp_f32_e32 v45, v45                                     // 000000005020: 7E5A452D
	v_rcp_f32_e32 v46, v46                                     // 000000005024: 7E5C452E
	v_rcp_f32_e32 v47, v47                                     // 000000005028: 7E5E452F
	v_mul_f32_e32 v164, v164, v44                              // 00000000502C: 0B4859A4
	v_mul_f32_e32 v165, v165, v45                              // 000000005030: 0B4A5BA5
	v_mul_f32_e32 v166, v166, v46                              // 000000005034: 0B4C5DA6
	v_mul_f32_e32 v167, v167, v47                              // 000000005038: 0B4E5FA7
	v_mul_f32_e32 v164, v164, v68                              // 00000000503C: 0B4889A4
	v_mul_f32_e32 v165, v165, v69                              // 000000005040: 0B4A8BA5
	v_mul_f32_e32 v166, v166, v70                              // 000000005044: 0B4C8DA6
	v_mul_f32_e32 v167, v167, v71                              // 000000005048: 0B4E8FA7
	s_waitcnt vmcnt(20)                                        // 00000000504C: BF8C4F74
	buffer_load_dwordx4 a[48:51], v42, s[12:15], 0 offen       // 000000005050: E05C1000 8083302A
	v_mul_f32_e32 v44, v168, v168                              // 000000005058: 0A5951A8
	v_mul_f32_e32 v45, v169, v169                              // 00000000505C: 0A5B53A9
	v_mul_f32_e32 v46, v170, v170                              // 000000005060: 0A5D55AA
	v_mul_f32_e32 v47, v171, v171                              // 000000005064: 0A5F57AB
	v_fma_f32 v44, v44, s77, v96                               // 000000005068: D1CB002C 05809B2C
	v_fma_f32 v45, v45, s77, v96                               // 000000005070: D1CB002D 05809B2D
	v_fma_f32 v46, v46, s77, v96                               // 000000005078: D1CB002E 05809B2E
	v_fma_f32 v47, v47, s77, v96                               // 000000005080: D1CB002F 05809B2F
	v_mul_f32_e32 v44, v44, v168                               // 000000005088: 0A59512C
	v_mul_f32_e32 v45, v45, v169                               // 00000000508C: 0A5B532D
	v_mul_f32_e32 v46, v46, v170                               // 000000005090: 0A5D552E
	v_mul_f32_e32 v47, v47, v171                               // 000000005094: 0A5F572F
	v_mul_f32_e64 v44, v44, s6                                 // 000000005098: D105002C 00000D2C
	v_mul_f32_e64 v45, v45, s6                                 // 0000000050A0: D105002D 00000D2D
	v_mul_f32_e64 v46, v46, s6                                 // 0000000050A8: D105002E 00000D2E
	v_mul_f32_e64 v47, v47, s6                                 // 0000000050B0: D105002F 00000D2F
	v_exp_f32_e32 v44, v44                                     // 0000000050B8: 7E58412C
	v_exp_f32_e32 v45, v45                                     // 0000000050BC: 7E5A412D
	v_exp_f32_e32 v46, v46                                     // 0000000050C0: 7E5C412E
	v_exp_f32_e32 v47, v47                                     // 0000000050C4: 7E5E412F
	buffer_load_dwordx4 a[52:55], v42, s[12:15], 0 offen offset:1024// 0000000050C8: E05C1400 8083342A
	v_add_f32_e64 v44, v44, 1.0                                // 0000000050D0: D101002C 0001E52C
	v_add_f32_e64 v45, v45, 1.0                                // 0000000050D8: D101002D 0001E52D
	v_add_f32_e64 v46, v46, 1.0                                // 0000000050E0: D101002E 0001E52E
	v_add_f32_e64 v47, v47, 1.0                                // 0000000050E8: D101002F 0001E52F
	v_rcp_f32_e32 v44, v44                                     // 0000000050F0: 7E58452C
	v_rcp_f32_e32 v45, v45                                     // 0000000050F4: 7E5A452D
	v_rcp_f32_e32 v46, v46                                     // 0000000050F8: 7E5C452E
	v_rcp_f32_e32 v47, v47                                     // 0000000050FC: 7E5E452F
	v_mul_f32_e32 v168, v168, v44                              // 000000005100: 0B5059A8
	v_mul_f32_e32 v169, v169, v45                              // 000000005104: 0B525BA9
	v_mul_f32_e32 v170, v170, v46                              // 000000005108: 0B545DAA
	v_mul_f32_e32 v171, v171, v47                              // 00000000510C: 0B565FAB
	v_mul_f32_e32 v168, v168, v72                              // 000000005110: 0B5091A8
	v_mul_f32_e32 v169, v169, v73                              // 000000005114: 0B5293A9
	v_mul_f32_e32 v170, v170, v74                              // 000000005118: 0B5495AA
	v_mul_f32_e32 v171, v171, v75                              // 00000000511C: 0B5697AB
	buffer_load_dwordx4 a[56:59], v43, s[12:15], 0 offen       // 000000005120: E05C1000 8083382B
	v_mul_f32_e32 v44, v172, v172                              // 000000005128: 0A5959AC
	v_mul_f32_e32 v45, v173, v173                              // 00000000512C: 0A5B5BAD
	v_mul_f32_e32 v46, v174, v174                              // 000000005130: 0A5D5DAE
	v_mul_f32_e32 v47, v175, v175                              // 000000005134: 0A5F5FAF
	v_fma_f32 v44, v44, s77, v96                               // 000000005138: D1CB002C 05809B2C
	v_fma_f32 v45, v45, s77, v96                               // 000000005140: D1CB002D 05809B2D
	v_fma_f32 v46, v46, s77, v96                               // 000000005148: D1CB002E 05809B2E
	v_fma_f32 v47, v47, s77, v96                               // 000000005150: D1CB002F 05809B2F
	v_mul_f32_e32 v44, v44, v172                               // 000000005158: 0A59592C
	v_mul_f32_e32 v45, v45, v173                               // 00000000515C: 0A5B5B2D
	v_mul_f32_e32 v46, v46, v174                               // 000000005160: 0A5D5D2E
	v_mul_f32_e32 v47, v47, v175                               // 000000005164: 0A5F5F2F
	v_mul_f32_e64 v44, v44, s6                                 // 000000005168: D105002C 00000D2C
	v_mul_f32_e64 v45, v45, s6                                 // 000000005170: D105002D 00000D2D
	v_mul_f32_e64 v46, v46, s6                                 // 000000005178: D105002E 00000D2E
	v_mul_f32_e64 v47, v47, s6                                 // 000000005180: D105002F 00000D2F
	v_exp_f32_e32 v44, v44                                     // 000000005188: 7E58412C
	v_exp_f32_e32 v45, v45                                     // 00000000518C: 7E5A412D
	v_exp_f32_e32 v46, v46                                     // 000000005190: 7E5C412E
	v_exp_f32_e32 v47, v47                                     // 000000005194: 7E5E412F
	buffer_load_dwordx4 a[60:63], v43, s[12:15], 0 offen offset:1024// 000000005198: E05C1400 80833C2B
	s_add_u32 s12, s78, s12                                    // 0000000051A0: 800C0C4E
	s_addc_u32 s13, 0, s13                                     // 0000000051A4: 820D0D80
	v_add_f32_e64 v44, v44, 1.0                                // 0000000051A8: D101002C 0001E52C
	v_add_f32_e64 v45, v45, 1.0                                // 0000000051B0: D101002D 0001E52D
	v_add_f32_e64 v46, v46, 1.0                                // 0000000051B8: D101002E 0001E52E
	v_add_f32_e64 v47, v47, 1.0                                // 0000000051C0: D101002F 0001E52F
	v_rcp_f32_e32 v44, v44                                     // 0000000051C8: 7E58452C
	v_rcp_f32_e32 v45, v45                                     // 0000000051CC: 7E5A452D
	v_rcp_f32_e32 v46, v46                                     // 0000000051D0: 7E5C452E
	v_rcp_f32_e32 v47, v47                                     // 0000000051D4: 7E5E452F
	v_mul_f32_e32 v172, v172, v44                              // 0000000051D8: 0B5859AC
	v_mul_f32_e32 v173, v173, v45                              // 0000000051DC: 0B5A5BAD
	v_mul_f32_e32 v174, v174, v46                              // 0000000051E0: 0B5C5DAE
	v_mul_f32_e32 v175, v175, v47                              // 0000000051E4: 0B5E5FAF
	v_mul_f32_e32 v172, v172, v76                              // 0000000051E8: 0B5899AC
	v_mul_f32_e32 v173, v173, v77                              // 0000000051EC: 0B5A9BAD
	v_mul_f32_e32 v174, v174, v78                              // 0000000051F0: 0B5C9DAE
	v_mul_f32_e32 v175, v175, v79                              // 0000000051F4: 0B5E9FAF
	s_waitcnt vmcnt(20)                                        // 0000000051F8: BF8C4F74
	buffer_load_dwordx4 a[64:67], v40, s[12:15], 0 offen       // 0000000051FC: E05C1000 80834028
	v_mul_f32_e32 v44, v176, v176                              // 000000005204: 0A5961B0
	v_mul_f32_e32 v45, v177, v177                              // 000000005208: 0A5B63B1
	v_mul_f32_e32 v46, v178, v178                              // 00000000520C: 0A5D65B2
	v_mul_f32_e32 v47, v179, v179                              // 000000005210: 0A5F67B3
	v_fma_f32 v44, v44, s77, v96                               // 000000005214: D1CB002C 05809B2C
	v_fma_f32 v45, v45, s77, v96                               // 00000000521C: D1CB002D 05809B2D
	v_fma_f32 v46, v46, s77, v96                               // 000000005224: D1CB002E 05809B2E
	v_fma_f32 v47, v47, s77, v96                               // 00000000522C: D1CB002F 05809B2F
	v_mul_f32_e32 v44, v44, v176                               // 000000005234: 0A59612C
	v_mul_f32_e32 v45, v45, v177                               // 000000005238: 0A5B632D
	v_mul_f32_e32 v46, v46, v178                               // 00000000523C: 0A5D652E
	v_mul_f32_e32 v47, v47, v179                               // 000000005240: 0A5F672F
	v_mul_f32_e64 v44, v44, s6                                 // 000000005244: D105002C 00000D2C
	v_mul_f32_e64 v45, v45, s6                                 // 00000000524C: D105002D 00000D2D
	v_mul_f32_e64 v46, v46, s6                                 // 000000005254: D105002E 00000D2E
	v_mul_f32_e64 v47, v47, s6                                 // 00000000525C: D105002F 00000D2F
	v_exp_f32_e32 v44, v44                                     // 000000005264: 7E58412C
	v_exp_f32_e32 v45, v45                                     // 000000005268: 7E5A412D
	v_exp_f32_e32 v46, v46                                     // 00000000526C: 7E5C412E
	v_exp_f32_e32 v47, v47                                     // 000000005270: 7E5E412F
	buffer_load_dwordx4 a[68:71], v40, s[12:15], 0 offen offset:1024// 000000005274: E05C1400 80834428
	v_add_f32_e64 v44, v44, 1.0                                // 00000000527C: D101002C 0001E52C
	v_add_f32_e64 v45, v45, 1.0                                // 000000005284: D101002D 0001E52D
	v_add_f32_e64 v46, v46, 1.0                                // 00000000528C: D101002E 0001E52E
	v_add_f32_e64 v47, v47, 1.0                                // 000000005294: D101002F 0001E52F
	v_rcp_f32_e32 v44, v44                                     // 00000000529C: 7E58452C
	v_rcp_f32_e32 v45, v45                                     // 0000000052A0: 7E5A452D
	v_rcp_f32_e32 v46, v46                                     // 0000000052A4: 7E5C452E
	v_rcp_f32_e32 v47, v47                                     // 0000000052A8: 7E5E452F
	v_mul_f32_e32 v176, v176, v44                              // 0000000052AC: 0B6059B0
	v_mul_f32_e32 v177, v177, v45                              // 0000000052B0: 0B625BB1
	v_mul_f32_e32 v178, v178, v46                              // 0000000052B4: 0B645DB2
	v_mul_f32_e32 v179, v179, v47                              // 0000000052B8: 0B665FB3
	v_mul_f32_e32 v176, v176, v80                              // 0000000052BC: 0B60A1B0
	v_mul_f32_e32 v177, v177, v81                              // 0000000052C0: 0B62A3B1
	v_mul_f32_e32 v178, v178, v82                              // 0000000052C4: 0B64A5B2
	v_mul_f32_e32 v179, v179, v83                              // 0000000052C8: 0B66A7B3
	buffer_load_dwordx4 a[72:75], v41, s[12:15], 0 offen       // 0000000052CC: E05C1000 80834829
	v_mul_f32_e32 v44, v180, v180                              // 0000000052D4: 0A5969B4
	v_mul_f32_e32 v45, v181, v181                              // 0000000052D8: 0A5B6BB5
	v_mul_f32_e32 v46, v182, v182                              // 0000000052DC: 0A5D6DB6
	v_mul_f32_e32 v47, v183, v183                              // 0000000052E0: 0A5F6FB7
	v_fma_f32 v44, v44, s77, v96                               // 0000000052E4: D1CB002C 05809B2C
	v_fma_f32 v45, v45, s77, v96                               // 0000000052EC: D1CB002D 05809B2D
	v_fma_f32 v46, v46, s77, v96                               // 0000000052F4: D1CB002E 05809B2E
	v_fma_f32 v47, v47, s77, v96                               // 0000000052FC: D1CB002F 05809B2F
	v_mul_f32_e32 v44, v44, v180                               // 000000005304: 0A59692C
	v_mul_f32_e32 v45, v45, v181                               // 000000005308: 0A5B6B2D
	v_mul_f32_e32 v46, v46, v182                               // 00000000530C: 0A5D6D2E
	v_mul_f32_e32 v47, v47, v183                               // 000000005310: 0A5F6F2F
	v_mul_f32_e64 v44, v44, s6                                 // 000000005314: D105002C 00000D2C
	v_mul_f32_e64 v45, v45, s6                                 // 00000000531C: D105002D 00000D2D
	v_mul_f32_e64 v46, v46, s6                                 // 000000005324: D105002E 00000D2E
	v_mul_f32_e64 v47, v47, s6                                 // 00000000532C: D105002F 00000D2F
	v_exp_f32_e32 v44, v44                                     // 000000005334: 7E58412C
	v_exp_f32_e32 v45, v45                                     // 000000005338: 7E5A412D
	v_exp_f32_e32 v46, v46                                     // 00000000533C: 7E5C412E
	v_exp_f32_e32 v47, v47                                     // 000000005340: 7E5E412F
	buffer_load_dwordx4 a[76:79], v41, s[12:15], 0 offen offset:1024// 000000005344: E05C1400 80834C29
	v_add_f32_e64 v44, v44, 1.0                                // 00000000534C: D101002C 0001E52C
	v_add_f32_e64 v45, v45, 1.0                                // 000000005354: D101002D 0001E52D
	v_add_f32_e64 v46, v46, 1.0                                // 00000000535C: D101002E 0001E52E
	v_add_f32_e64 v47, v47, 1.0                                // 000000005364: D101002F 0001E52F
	v_rcp_f32_e32 v44, v44                                     // 00000000536C: 7E58452C
	v_rcp_f32_e32 v45, v45                                     // 000000005370: 7E5A452D
	v_rcp_f32_e32 v46, v46                                     // 000000005374: 7E5C452E
	v_rcp_f32_e32 v47, v47                                     // 000000005378: 7E5E452F
	v_mul_f32_e32 v180, v180, v44                              // 00000000537C: 0B6859B4
	v_mul_f32_e32 v181, v181, v45                              // 000000005380: 0B6A5BB5
	v_mul_f32_e32 v182, v182, v46                              // 000000005384: 0B6C5DB6
	v_mul_f32_e32 v183, v183, v47                              // 000000005388: 0B6E5FB7
	v_mul_f32_e32 v180, v180, v84                              // 00000000538C: 0B68A9B4
	v_mul_f32_e32 v181, v181, v85                              // 000000005390: 0B6AABB5
	v_mul_f32_e32 v182, v182, v86                              // 000000005394: 0B6CADB6
	v_mul_f32_e32 v183, v183, v87                              // 000000005398: 0B6EAFB7
	s_waitcnt vmcnt(20)                                        // 00000000539C: BF8C4F74
	buffer_load_dwordx4 a[80:83], v42, s[12:15], 0 offen       // 0000000053A0: E05C1000 8083502A
	v_mul_f32_e32 v44, v184, v184                              // 0000000053A8: 0A5971B8
	v_mul_f32_e32 v45, v185, v185                              // 0000000053AC: 0A5B73B9
	v_mul_f32_e32 v46, v186, v186                              // 0000000053B0: 0A5D75BA
	v_mul_f32_e32 v47, v187, v187                              // 0000000053B4: 0A5F77BB
	v_fma_f32 v44, v44, s77, v96                               // 0000000053B8: D1CB002C 05809B2C
	v_fma_f32 v45, v45, s77, v96                               // 0000000053C0: D1CB002D 05809B2D
	v_fma_f32 v46, v46, s77, v96                               // 0000000053C8: D1CB002E 05809B2E
	v_fma_f32 v47, v47, s77, v96                               // 0000000053D0: D1CB002F 05809B2F
	v_mul_f32_e32 v44, v44, v184                               // 0000000053D8: 0A59712C
	v_mul_f32_e32 v45, v45, v185                               // 0000000053DC: 0A5B732D
	v_mul_f32_e32 v46, v46, v186                               // 0000000053E0: 0A5D752E
	v_mul_f32_e32 v47, v47, v187                               // 0000000053E4: 0A5F772F
	v_mul_f32_e64 v44, v44, s6                                 // 0000000053E8: D105002C 00000D2C
	v_mul_f32_e64 v45, v45, s6                                 // 0000000053F0: D105002D 00000D2D
	v_mul_f32_e64 v46, v46, s6                                 // 0000000053F8: D105002E 00000D2E
	v_mul_f32_e64 v47, v47, s6                                 // 000000005400: D105002F 00000D2F
	v_exp_f32_e32 v44, v44                                     // 000000005408: 7E58412C
	v_exp_f32_e32 v45, v45                                     // 00000000540C: 7E5A412D
	v_exp_f32_e32 v46, v46                                     // 000000005410: 7E5C412E
	v_exp_f32_e32 v47, v47                                     // 000000005414: 7E5E412F
	buffer_load_dwordx4 a[84:87], v42, s[12:15], 0 offen offset:1024// 000000005418: E05C1400 8083542A
	v_add_f32_e64 v44, v44, 1.0                                // 000000005420: D101002C 0001E52C
	v_add_f32_e64 v45, v45, 1.0                                // 000000005428: D101002D 0001E52D
	v_add_f32_e64 v46, v46, 1.0                                // 000000005430: D101002E 0001E52E
	v_add_f32_e64 v47, v47, 1.0                                // 000000005438: D101002F 0001E52F
	v_rcp_f32_e32 v44, v44                                     // 000000005440: 7E58452C
	v_rcp_f32_e32 v45, v45                                     // 000000005444: 7E5A452D
	v_rcp_f32_e32 v46, v46                                     // 000000005448: 7E5C452E
	v_rcp_f32_e32 v47, v47                                     // 00000000544C: 7E5E452F
	v_mul_f32_e32 v184, v184, v44                              // 000000005450: 0B7059B8
	v_mul_f32_e32 v185, v185, v45                              // 000000005454: 0B725BB9
	v_mul_f32_e32 v186, v186, v46                              // 000000005458: 0B745DBA
	v_mul_f32_e32 v187, v187, v47                              // 00000000545C: 0B765FBB
	v_mul_f32_e32 v184, v184, v88                              // 000000005460: 0B70B1B8
	v_mul_f32_e32 v185, v185, v89                              // 000000005464: 0B72B3B9
	v_mul_f32_e32 v186, v186, v90                              // 000000005468: 0B74B5BA
	v_mul_f32_e32 v187, v187, v91                              // 00000000546C: 0B76B7BB
	buffer_load_dwordx4 a[88:91], v43, s[12:15], 0 offen       // 000000005470: E05C1000 8083582B
	v_mul_f32_e32 v44, v188, v188                              // 000000005478: 0A5979BC
	v_mul_f32_e32 v45, v189, v189                              // 00000000547C: 0A5B7BBD
	v_mul_f32_e32 v46, v190, v190                              // 000000005480: 0A5D7DBE
	v_mul_f32_e32 v47, v191, v191                              // 000000005484: 0A5F7FBF
	v_fma_f32 v44, v44, s77, v96                               // 000000005488: D1CB002C 05809B2C
	v_fma_f32 v45, v45, s77, v96                               // 000000005490: D1CB002D 05809B2D
	v_fma_f32 v46, v46, s77, v96                               // 000000005498: D1CB002E 05809B2E
	v_fma_f32 v47, v47, s77, v96                               // 0000000054A0: D1CB002F 05809B2F
	v_mul_f32_e32 v44, v44, v188                               // 0000000054A8: 0A59792C
	v_mul_f32_e32 v45, v45, v189                               // 0000000054AC: 0A5B7B2D
	v_mul_f32_e32 v46, v46, v190                               // 0000000054B0: 0A5D7D2E
	v_mul_f32_e32 v47, v47, v191                               // 0000000054B4: 0A5F7F2F
	v_mul_f32_e64 v44, v44, s6                                 // 0000000054B8: D105002C 00000D2C
	v_mul_f32_e64 v45, v45, s6                                 // 0000000054C0: D105002D 00000D2D
	v_mul_f32_e64 v46, v46, s6                                 // 0000000054C8: D105002E 00000D2E
	v_mul_f32_e64 v47, v47, s6                                 // 0000000054D0: D105002F 00000D2F
	v_exp_f32_e32 v44, v44                                     // 0000000054D8: 7E58412C
	v_exp_f32_e32 v45, v45                                     // 0000000054DC: 7E5A412D
	v_exp_f32_e32 v46, v46                                     // 0000000054E0: 7E5C412E
	v_exp_f32_e32 v47, v47                                     // 0000000054E4: 7E5E412F
	buffer_load_dwordx4 a[92:95], v43, s[12:15], 0 offen offset:1024// 0000000054E8: E05C1400 80835C2B
	v_add_f32_e64 v44, v44, 1.0                                // 0000000054F0: D101002C 0001E52C
	v_add_f32_e64 v45, v45, 1.0                                // 0000000054F8: D101002D 0001E52D
	v_add_f32_e64 v46, v46, 1.0                                // 000000005500: D101002E 0001E52E
	v_add_f32_e64 v47, v47, 1.0                                // 000000005508: D101002F 0001E52F
	v_rcp_f32_e32 v44, v44                                     // 000000005510: 7E58452C
	v_rcp_f32_e32 v45, v45                                     // 000000005514: 7E5A452D
	v_rcp_f32_e32 v46, v46                                     // 000000005518: 7E5C452E
	v_rcp_f32_e32 v47, v47                                     // 00000000551C: 7E5E452F
	v_mul_f32_e32 v188, v188, v44                              // 000000005520: 0B7859BC
	v_mul_f32_e32 v189, v189, v45                              // 000000005524: 0B7A5BBD
	v_mul_f32_e32 v190, v190, v46                              // 000000005528: 0B7C5DBE
	v_mul_f32_e32 v191, v191, v47                              // 00000000552C: 0B7E5FBF
	v_mul_f32_e32 v188, v188, v92                              // 000000005530: 0B78B9BC
	v_mul_f32_e32 v189, v189, v93                              // 000000005534: 0B7ABBBD
	v_mul_f32_e32 v190, v190, v94                              // 000000005538: 0B7CBDBE
	v_mul_f32_e32 v191, v191, v95                              // 00000000553C: 0B7EBFBF
	buffer_load_dword v22, v5, s[16:19], 0 offen               // 000000005540: E0501000 80041605
	v_mov_b32_e32 v128, 0x358637bd                             // 000000005548: 7F0002FF 358637BD
	v_mov_b32_e32 v129, 0x358637bd                             // 000000005550: 7F0202FF 358637BD
	v_max3_f32 v128, |v144|, |v145|, v128                      // 000000005558: D1D30380 06032390
	v_max3_f32 v128, |v146|, |v147|, v128                      // 000000005560: D1D30380 06032792
	v_max3_f32 v129, |v148|, |v149|, v129                      // 000000005568: D1D30381 06072B94
	v_max3_f32 v129, |v150|, |v151|, v129                      // 000000005570: D1D30381 06072F96
	v_max3_f32 v128, |v152|, |v153|, v128                      // 000000005578: D1D30380 06033398
	v_max3_f32 v128, |v154|, |v155|, v128                      // 000000005580: D1D30380 0603379A
	v_max3_f32 v129, |v156|, |v157|, v129                      // 000000005588: D1D30381 06073B9C
	v_max3_f32 v129, |v158|, |v159|, v129                      // 000000005590: D1D30381 06073F9E
	v_mov_b32_e32 v44, v128                                    // 000000005598: 7E580380
	s_nop 1                                                    // 00000000559C: BF800001
	v_permlane32_swap_b32_e32 v44, v128                        // 0000000055A0: 7E58B580
	v_max_f32_e32 v128, v44, v128                              // 0000000055A4: 1701012C
	v_mov_b32_e32 v44, v128                                    // 0000000055A8: 7E580380
	s_nop 1                                                    // 0000000055AC: BF800001
	v_permlane16_swap_b32_e32 v44, v128                        // 0000000055B0: 7E58B380
	v_max_f32_e32 v128, v44, v128                              // 0000000055B4: 1701012C
	v_mov_b32_e32 v44, v129                                    // 0000000055B8: 7E580381
	s_nop 1                                                    // 0000000055BC: BF800001
	v_permlane32_swap_b32_e32 v44, v129                        // 0000000055C0: 7E58B581
	v_max_f32_e32 v129, v44, v129                              // 0000000055C4: 1703032C
	v_mov_b32_e32 v44, v129                                    // 0000000055C8: 7E580381
	s_nop 1                                                    // 0000000055CC: BF800001
	v_permlane16_swap_b32_e32 v44, v129                        // 0000000055D0: 7E58B381
	v_max_f32_e32 v129, v44, v129                              // 0000000055D4: 1703032C
	v_lshlrev_b32_e32 v44, 2, v0                               // 0000000055D8: 24580082
	s_mul_i32 s60, 64, s7                                      // 0000000055DC: 923C07C0
	v_add_u32_e32 v44, s60, v44                                // 0000000055E0: 6858583C
	s_mov_b32 s60, 0xffff                                      // 0000000055E4: BEBC00FF 0000FFFF
	s_mov_b32 s61, 0                                           // 0000000055EC: BEBD0080
	s_mov_b64 exec, s[60:61]                                   // 0000000055F0: BEFE013C
	ds_write_b32 v44, v128 offset:18944                        // 0000000055F4: D81A4A00 0000802C
	ds_write_b32 v44, v129 offset:19200                        // 0000000055FC: D81A4B00 0000812C
	s_mov_b32 s60, -1                                          // 000000005604: BEBC00C1
	s_mov_b32 s61, -1                                          // 000000005608: BEBD00C1
	s_mov_b64 exec, s[60:61]                                   // 00000000560C: BEFE013C
	s_waitcnt lgkmcnt(0)                                       // 000000005610: BF8CC07F
	s_barrier                                                  // 000000005614: BF8A0000
	v_lshlrev_b32_e32 v44, 2, v0                               // 000000005618: 24580082
	ds_read_b32 v96, v44 offset:18944                          // 00000000561C: D86C4A00 6000002C
	ds_read_b32 v97, v44 offset:19200                          // 000000005624: D86C4B00 6100002C
	s_waitcnt lgkmcnt(0)                                       // 00000000562C: BF8CC07F
	v_mov_b32_e32 v44, v96                                     // 000000005630: 7E580360
	s_nop 1                                                    // 000000005634: BF800001
	v_permlane32_swap_b32_e32 v44, v96                         // 000000005638: 7E58B560
	v_max_f32_e32 v96, v44, v96                                // 00000000563C: 16C0C12C
	v_mov_b32_e32 v44, v96                                     // 000000005640: 7E580360
	s_nop 1                                                    // 000000005644: BF800001
	v_permlane16_swap_b32_e32 v44, v96                         // 000000005648: 7E58B360
	v_max_f32_e32 v96, v44, v96                                // 00000000564C: 16C0C12C
	v_mov_b32_e32 v44, v97                                     // 000000005650: 7E580361
	s_nop 1                                                    // 000000005654: BF800001
	v_permlane32_swap_b32_e32 v44, v97                         // 000000005658: 7E58B561
	v_max_f32_e32 v97, v44, v97                                // 00000000565C: 16C2C32C
	v_mov_b32_e32 v44, v97                                     // 000000005660: 7E580361
	s_nop 1                                                    // 000000005664: BF800001
	v_permlane16_swap_b32_e32 v44, v97                         // 000000005668: 7E58B361
	v_max_f32_e32 v97, v44, v97                                // 00000000566C: 16C2C32C
	v_max_f32_e32 v128, v96, v128                              // 000000005670: 17010160
	v_max_f32_e32 v129, v97, v129                              // 000000005674: 17030361
	v_rcp_f32_e32 v128, v128                                   // 000000005678: 7F004580
	v_rcp_f32_e32 v129, v129                                   // 00000000567C: 7F024581
	v_mov_b32_e32 v44, 0x43e00000                              // 000000005680: 7E5802FF 43E00000
	v_mul_f32_e32 v128, v44, v128                              // 000000005688: 0B01012C
	v_mul_f32_e32 v129, v44, v129                              // 00000000568C: 0B03032C
	v_mul_f32_e32 v144, v128, v144                             // 000000005690: 0B212180
	v_mul_f32_e32 v145, v128, v145                             // 000000005694: 0B232380
	v_mul_f32_e32 v146, v128, v146                             // 000000005698: 0B252580
	v_mul_f32_e32 v147, v128, v147                             // 00000000569C: 0B272780
	v_cvt_pk_fp8_f32 v144, v144, v145                          // 0000000056A0: D2A20090 00032390
	v_cvt_pk_fp8_f32 v144, v146, v147 op_sel:[0,0,1]           // 0000000056A8: D2A24090 00032792
	v_mul_f32_e32 v148, v129, v148                             // 0000000056B0: 0B292981
	v_mul_f32_e32 v149, v129, v149                             // 0000000056B4: 0B2B2B81
	v_mul_f32_e32 v150, v129, v150                             // 0000000056B8: 0B2D2D81
	v_mul_f32_e32 v151, v129, v151                             // 0000000056BC: 0B2F2F81
	v_cvt_pk_fp8_f32 v145, v148, v149                          // 0000000056C0: D2A20091 00032B94
	v_cvt_pk_fp8_f32 v145, v150, v151 op_sel:[0,0,1]           // 0000000056C8: D2A24091 00032F96
	v_mul_f32_e32 v152, v128, v152                             // 0000000056D0: 0B313180
	v_mul_f32_e32 v153, v128, v153                             // 0000000056D4: 0B333380
	v_mul_f32_e32 v154, v128, v154                             // 0000000056D8: 0B353580
	v_mul_f32_e32 v155, v128, v155                             // 0000000056DC: 0B373780
	v_cvt_pk_fp8_f32 v146, v152, v153                          // 0000000056E0: D2A20092 00033398
	v_cvt_pk_fp8_f32 v146, v154, v155 op_sel:[0,0,1]           // 0000000056E8: D2A24092 0003379A
	v_mul_f32_e32 v156, v129, v156                             // 0000000056F0: 0B393981
	v_mul_f32_e32 v157, v129, v157                             // 0000000056F4: 0B3B3B81
	v_mul_f32_e32 v158, v129, v158                             // 0000000056F8: 0B3D3D81
	v_mul_f32_e32 v159, v129, v159                             // 0000000056FC: 0B3F3F81
	v_cvt_pk_fp8_f32 v147, v156, v157                          // 000000005700: D2A20093 00033B9C
	v_cvt_pk_fp8_f32 v147, v158, v159 op_sel:[0,0,1]           // 000000005708: D2A24093 00033F9E
	v_rcp_f32_e32 v134, v128                                   // 000000005710: 7F0C4580
	v_rcp_f32_e32 v135, v129                                   // 000000005714: 7F0E4581
	v_mov_b32_e32 v130, 0x358637bd                             // 000000005718: 7F0402FF 358637BD
	v_mov_b32_e32 v131, 0x358637bd                             // 000000005720: 7F0602FF 358637BD
	v_max3_f32 v130, |v160|, |v161|, v130                      // 000000005728: D1D30382 060B43A0
	v_max3_f32 v130, |v162|, |v163|, v130                      // 000000005730: D1D30382 060B47A2
	v_max3_f32 v131, |v164|, |v165|, v131                      // 000000005738: D1D30383 060F4BA4
	v_max3_f32 v131, |v166|, |v167|, v131                      // 000000005740: D1D30383 060F4FA6
	v_max3_f32 v130, |v168|, |v169|, v130                      // 000000005748: D1D30382 060B53A8
	v_max3_f32 v130, |v170|, |v171|, v130                      // 000000005750: D1D30382 060B57AA
	v_max3_f32 v131, |v172|, |v173|, v131                      // 000000005758: D1D30383 060F5BAC
	v_max3_f32 v131, |v174|, |v175|, v131                      // 000000005760: D1D30383 060F5FAE
	v_mov_b32_e32 v44, v130                                    // 000000005768: 7E580382
	s_nop 1                                                    // 00000000576C: BF800001
	v_permlane32_swap_b32_e32 v44, v130                        // 000000005770: 7E58B582
	v_max_f32_e32 v130, v44, v130                              // 000000005774: 1705052C
	v_mov_b32_e32 v44, v130                                    // 000000005778: 7E580382
	s_nop 1                                                    // 00000000577C: BF800001
	v_permlane16_swap_b32_e32 v44, v130                        // 000000005780: 7E58B382
	v_max_f32_e32 v130, v44, v130                              // 000000005784: 1705052C
	v_mov_b32_e32 v44, v131                                    // 000000005788: 7E580383
	s_nop 1                                                    // 00000000578C: BF800001
	v_permlane32_swap_b32_e32 v44, v131                        // 000000005790: 7E58B583
	v_max_f32_e32 v131, v44, v131                              // 000000005794: 1707072C
	v_mov_b32_e32 v44, v131                                    // 000000005798: 7E580383
	s_nop 1                                                    // 00000000579C: BF800001
	v_permlane16_swap_b32_e32 v44, v131                        // 0000000057A0: 7E58B383
	v_max_f32_e32 v131, v44, v131                              // 0000000057A4: 1707072C
	v_lshlrev_b32_e32 v44, 2, v0                               // 0000000057A8: 24580082
	s_mul_i32 s60, 64, s7                                      // 0000000057AC: 923C07C0
	v_add_u32_e32 v44, s60, v44                                // 0000000057B0: 6858583C
	s_mov_b32 s60, 0xffff                                      // 0000000057B4: BEBC00FF 0000FFFF
	s_mov_b32 s61, 0                                           // 0000000057BC: BEBD0080
	s_mov_b64 exec, s[60:61]                                   // 0000000057C0: BEFE013C
	ds_write_b32 v44, v130 offset:18944                        // 0000000057C4: D81A4A00 0000822C
	ds_write_b32 v44, v131 offset:19200                        // 0000000057CC: D81A4B00 0000832C
	s_mov_b32 s60, -1                                          // 0000000057D4: BEBC00C1
	s_mov_b32 s61, -1                                          // 0000000057D8: BEBD00C1
	s_mov_b64 exec, s[60:61]                                   // 0000000057DC: BEFE013C
	s_waitcnt lgkmcnt(0)                                       // 0000000057E0: BF8CC07F
	s_barrier                                                  // 0000000057E4: BF8A0000
	v_lshlrev_b32_e32 v44, 2, v0                               // 0000000057E8: 24580082
	ds_read_b32 v96, v44 offset:18944                          // 0000000057EC: D86C4A00 6000002C
	ds_read_b32 v97, v44 offset:19200                          // 0000000057F4: D86C4B00 6100002C
	s_waitcnt lgkmcnt(0)                                       // 0000000057FC: BF8CC07F
	v_mov_b32_e32 v44, v96                                     // 000000005800: 7E580360
	s_nop 1                                                    // 000000005804: BF800001
	v_permlane32_swap_b32_e32 v44, v96                         // 000000005808: 7E58B560
	v_max_f32_e32 v96, v44, v96                                // 00000000580C: 16C0C12C
	v_mov_b32_e32 v44, v96                                     // 000000005810: 7E580360
	s_nop 1                                                    // 000000005814: BF800001
	v_permlane16_swap_b32_e32 v44, v96                         // 000000005818: 7E58B360
	v_max_f32_e32 v96, v44, v96                                // 00000000581C: 16C0C12C
	v_mov_b32_e32 v44, v97                                     // 000000005820: 7E580361
	s_nop 1                                                    // 000000005824: BF800001
	v_permlane32_swap_b32_e32 v44, v97                         // 000000005828: 7E58B561
	v_max_f32_e32 v97, v44, v97                                // 00000000582C: 16C2C32C
	v_mov_b32_e32 v44, v97                                     // 000000005830: 7E580361
	s_nop 1                                                    // 000000005834: BF800001
	v_permlane16_swap_b32_e32 v44, v97                         // 000000005838: 7E58B361
	v_max_f32_e32 v97, v44, v97                                // 00000000583C: 16C2C32C
	v_max_f32_e32 v130, v96, v130                              // 000000005840: 17050560
	v_max_f32_e32 v131, v97, v131                              // 000000005844: 17070761
	v_rcp_f32_e32 v130, v130                                   // 000000005848: 7F044582
	v_rcp_f32_e32 v131, v131                                   // 00000000584C: 7F064583
	v_mov_b32_e32 v44, 0x43e00000                              // 000000005850: 7E5802FF 43E00000
	v_mul_f32_e32 v130, v44, v130                              // 000000005858: 0B05052C
	v_mul_f32_e32 v131, v44, v131                              // 00000000585C: 0B07072C
	v_mul_f32_e32 v160, v130, v160                             // 000000005860: 0B414182
	v_mul_f32_e32 v161, v130, v161                             // 000000005864: 0B434382
	v_mul_f32_e32 v162, v130, v162                             // 000000005868: 0B454582
	v_mul_f32_e32 v163, v130, v163                             // 00000000586C: 0B474782
	v_cvt_pk_fp8_f32 v148, v160, v161                          // 000000005870: D2A20094 000343A0
	v_cvt_pk_fp8_f32 v148, v162, v163 op_sel:[0,0,1]           // 000000005878: D2A24094 000347A2
	v_mul_f32_e32 v164, v131, v164                             // 000000005880: 0B494983
	v_mul_f32_e32 v165, v131, v165                             // 000000005884: 0B4B4B83
	v_mul_f32_e32 v166, v131, v166                             // 000000005888: 0B4D4D83
	v_mul_f32_e32 v167, v131, v167                             // 00000000588C: 0B4F4F83
	v_cvt_pk_fp8_f32 v149, v164, v165                          // 000000005890: D2A20095 00034BA4
	v_cvt_pk_fp8_f32 v149, v166, v167 op_sel:[0,0,1]           // 000000005898: D2A24095 00034FA6
	v_mul_f32_e32 v168, v130, v168                             // 0000000058A0: 0B515182
	v_mul_f32_e32 v169, v130, v169                             // 0000000058A4: 0B535382
	v_mul_f32_e32 v170, v130, v170                             // 0000000058A8: 0B555582
	v_mul_f32_e32 v171, v130, v171                             // 0000000058AC: 0B575782
	v_cvt_pk_fp8_f32 v150, v168, v169                          // 0000000058B0: D2A20096 000353A8
	v_cvt_pk_fp8_f32 v150, v170, v171 op_sel:[0,0,1]           // 0000000058B8: D2A24096 000357AA
	v_mul_f32_e32 v172, v131, v172                             // 0000000058C0: 0B595983
	v_mul_f32_e32 v173, v131, v173                             // 0000000058C4: 0B5B5B83
	v_mul_f32_e32 v174, v131, v174                             // 0000000058C8: 0B5D5D83
	v_mul_f32_e32 v175, v131, v175                             // 0000000058CC: 0B5F5F83
	v_cvt_pk_fp8_f32 v151, v172, v173                          // 0000000058D0: D2A20097 00035BAC
	v_cvt_pk_fp8_f32 v151, v174, v175 op_sel:[0,0,1]           // 0000000058D8: D2A24097 00035FAE
	v_rcp_f32_e32 v136, v130                                   // 0000000058E0: 7F104582
	v_rcp_f32_e32 v137, v131                                   // 0000000058E4: 7F124583
	v_mov_b32_e32 v132, 0x358637bd                             // 0000000058E8: 7F0802FF 358637BD
	v_mov_b32_e32 v133, 0x358637bd                             // 0000000058F0: 7F0A02FF 358637BD
	v_max3_f32 v132, |v176|, |v177|, v132                      // 0000000058F8: D1D30384 061363B0
	v_max3_f32 v132, |v178|, |v179|, v132                      // 000000005900: D1D30384 061367B2
	v_max3_f32 v133, |v180|, |v181|, v133                      // 000000005908: D1D30385 06176BB4
	v_max3_f32 v133, |v182|, |v183|, v133                      // 000000005910: D1D30385 06176FB6
	v_max3_f32 v132, |v184|, |v185|, v132                      // 000000005918: D1D30384 061373B8
	v_max3_f32 v132, |v186|, |v187|, v132                      // 000000005920: D1D30384 061377BA
	v_max3_f32 v133, |v188|, |v189|, v133                      // 000000005928: D1D30385 06177BBC
	v_max3_f32 v133, |v190|, |v191|, v133                      // 000000005930: D1D30385 06177FBE
	v_mov_b32_e32 v44, v132                                    // 000000005938: 7E580384
	s_nop 1                                                    // 00000000593C: BF800001
	v_permlane32_swap_b32_e32 v44, v132                        // 000000005940: 7E58B584
	v_max_f32_e32 v132, v44, v132                              // 000000005944: 1709092C
	v_mov_b32_e32 v44, v132                                    // 000000005948: 7E580384
	s_nop 1                                                    // 00000000594C: BF800001
	v_permlane16_swap_b32_e32 v44, v132                        // 000000005950: 7E58B384
	v_max_f32_e32 v132, v44, v132                              // 000000005954: 1709092C
	v_mov_b32_e32 v44, v133                                    // 000000005958: 7E580385
	s_nop 1                                                    // 00000000595C: BF800001
	v_permlane32_swap_b32_e32 v44, v133                        // 000000005960: 7E58B585
	v_max_f32_e32 v133, v44, v133                              // 000000005964: 170B0B2C
	v_mov_b32_e32 v44, v133                                    // 000000005968: 7E580385
	s_nop 1                                                    // 00000000596C: BF800001
	v_permlane16_swap_b32_e32 v44, v133                        // 000000005970: 7E58B385
	v_max_f32_e32 v133, v44, v133                              // 000000005974: 170B0B2C
	v_lshlrev_b32_e32 v44, 2, v0                               // 000000005978: 24580082
	s_mul_i32 s60, 64, s7                                      // 00000000597C: 923C07C0
	v_add_u32_e32 v44, s60, v44                                // 000000005980: 6858583C
	s_mov_b32 s60, 0xffff                                      // 000000005984: BEBC00FF 0000FFFF
	s_mov_b32 s61, 0                                           // 00000000598C: BEBD0080
	s_mov_b64 exec, s[60:61]                                   // 000000005990: BEFE013C
	ds_write_b32 v44, v132 offset:18944                        // 000000005994: D81A4A00 0000842C
	ds_write_b32 v44, v133 offset:19200                        // 00000000599C: D81A4B00 0000852C
	s_mov_b32 s60, -1                                          // 0000000059A4: BEBC00C1
	s_mov_b32 s61, -1                                          // 0000000059A8: BEBD00C1
	s_mov_b64 exec, s[60:61]                                   // 0000000059AC: BEFE013C
	s_waitcnt lgkmcnt(0)                                       // 0000000059B0: BF8CC07F
	s_barrier                                                  // 0000000059B4: BF8A0000
	v_lshlrev_b32_e32 v44, 2, v0                               // 0000000059B8: 24580082
	ds_read_b32 v96, v44 offset:18944                          // 0000000059BC: D86C4A00 6000002C
	ds_read_b32 v97, v44 offset:19200                          // 0000000059C4: D86C4B00 6100002C
	s_waitcnt lgkmcnt(0)                                       // 0000000059CC: BF8CC07F
	v_mov_b32_e32 v44, v96                                     // 0000000059D0: 7E580360
	s_nop 1                                                    // 0000000059D4: BF800001
	v_permlane32_swap_b32_e32 v44, v96                         // 0000000059D8: 7E58B560
	v_max_f32_e32 v96, v44, v96                                // 0000000059DC: 16C0C12C
	v_mov_b32_e32 v44, v96                                     // 0000000059E0: 7E580360
	s_nop 1                                                    // 0000000059E4: BF800001
	v_permlane16_swap_b32_e32 v44, v96                         // 0000000059E8: 7E58B360
	v_max_f32_e32 v96, v44, v96                                // 0000000059EC: 16C0C12C
	v_mov_b32_e32 v44, v97                                     // 0000000059F0: 7E580361
	s_nop 1                                                    // 0000000059F4: BF800001
	v_permlane32_swap_b32_e32 v44, v97                         // 0000000059F8: 7E58B561
	v_max_f32_e32 v97, v44, v97                                // 0000000059FC: 16C2C32C
	v_mov_b32_e32 v44, v97                                     // 000000005A00: 7E580361
	s_nop 1                                                    // 000000005A04: BF800001
	v_permlane16_swap_b32_e32 v44, v97                         // 000000005A08: 7E58B361
	v_max_f32_e32 v97, v44, v97                                // 000000005A0C: 16C2C32C
	v_max_f32_e32 v132, v96, v132                              // 000000005A10: 17090960
	v_max_f32_e32 v133, v97, v133                              // 000000005A14: 170B0B61
	v_rcp_f32_e32 v132, v132                                   // 000000005A18: 7F084584
	v_rcp_f32_e32 v133, v133                                   // 000000005A1C: 7F0A4585
	v_mov_b32_e32 v44, 0x43e00000                              // 000000005A20: 7E5802FF 43E00000
	v_mul_f32_e32 v132, v44, v132                              // 000000005A28: 0B09092C
	v_mul_f32_e32 v133, v44, v133                              // 000000005A2C: 0B0B0B2C
	v_mul_f32_e32 v176, v132, v176                             // 000000005A30: 0B616184
	v_mul_f32_e32 v177, v132, v177                             // 000000005A34: 0B636384
	v_mul_f32_e32 v178, v132, v178                             // 000000005A38: 0B656584
	v_mul_f32_e32 v179, v132, v179                             // 000000005A3C: 0B676784
	v_cvt_pk_fp8_f32 v152, v176, v177                          // 000000005A40: D2A20098 000363B0
	v_cvt_pk_fp8_f32 v152, v178, v179 op_sel:[0,0,1]           // 000000005A48: D2A24098 000367B2
	v_mul_f32_e32 v180, v133, v180                             // 000000005A50: 0B696985
	v_mul_f32_e32 v181, v133, v181                             // 000000005A54: 0B6B6B85
	v_mul_f32_e32 v182, v133, v182                             // 000000005A58: 0B6D6D85
	v_mul_f32_e32 v183, v133, v183                             // 000000005A5C: 0B6F6F85
	v_cvt_pk_fp8_f32 v153, v180, v181                          // 000000005A60: D2A20099 00036BB4
	v_cvt_pk_fp8_f32 v153, v182, v183 op_sel:[0,0,1]           // 000000005A68: D2A24099 00036FB6
	v_mul_f32_e32 v184, v132, v184                             // 000000005A70: 0B717184
	v_mul_f32_e32 v185, v132, v185                             // 000000005A74: 0B737384
	v_mul_f32_e32 v186, v132, v186                             // 000000005A78: 0B757584
	v_mul_f32_e32 v187, v132, v187                             // 000000005A7C: 0B777784
	v_cvt_pk_fp8_f32 v154, v184, v185                          // 000000005A80: D2A2009A 000373B8
	v_cvt_pk_fp8_f32 v154, v186, v187 op_sel:[0,0,1]           // 000000005A88: D2A2409A 000377BA
	v_mul_f32_e32 v188, v133, v188                             // 000000005A90: 0B797985
	v_mul_f32_e32 v189, v133, v189                             // 000000005A94: 0B7B7B85
	v_mul_f32_e32 v190, v133, v190                             // 000000005A98: 0B7D7D85
	v_mul_f32_e32 v191, v133, v191                             // 000000005A9C: 0B7F7F85
	v_cvt_pk_fp8_f32 v155, v188, v189                          // 000000005AA0: D2A2009B 00037BBC
	v_cvt_pk_fp8_f32 v155, v190, v191 op_sel:[0,0,1]           // 000000005AA8: D2A2409B 00037FBE
	v_rcp_f32_e32 v138, v132                                   // 000000005AB0: 7F144584
	v_rcp_f32_e32 v139, v133                                   // 000000005AB4: 7F164585
	v_lshlrev_b32_e32 v44, 2, v0                               // 000000005AB8: 24580082
	s_mul_i32 s60, s82, s71                                    // 000000005ABC: 923C4752
	v_add_u32_e64 v64, v44, s60                                // 000000005AC0: D1340040 0000792C
	v_mov_b32_e32 v65, 0                                       // 000000005AC8: 7E820280
	s_mul_i32 s60, s83, s71                                    // 000000005ACC: 923C4753
	v_add_u32_e64 v66, v44, s60                                // 000000005AD0: D1340042 0000792C
	v_mov_b32_e32 v67, 0                                       // 000000005AD8: 7E860280
	s_mul_i32 s60, s84, s71                                    // 000000005ADC: 923C4754
	v_add_u32_e64 v68, v44, s60                                // 000000005AE0: D1340044 0000792C
	v_mov_b32_e32 v69, 0                                       // 000000005AE8: 7E8A0280
	s_mul_i32 s60, s85, s71                                    // 000000005AEC: 923C4755
	v_add_u32_e64 v70, v44, s60                                // 000000005AF0: D1340046 0000792C
	v_mov_b32_e32 v71, 0                                       // 000000005AF8: 7E8E0280
	s_mul_i32 s60, s86, s71                                    // 000000005AFC: 923C4756
	v_add_u32_e64 v72, v44, s60                                // 000000005B00: D1340048 0000792C
	v_mov_b32_e32 v73, 0                                       // 000000005B08: 7E920280
	s_mul_i32 s60, s87, s71                                    // 000000005B0C: 923C4757
	v_add_u32_e64 v74, v44, s60                                // 000000005B10: D134004A 0000792C
	v_mov_b32_e32 v75, 0                                       // 000000005B18: 7E960280
	s_mul_i32 s60, s88, s71                                    // 000000005B1C: 923C4758
	v_add_u32_e64 v76, v44, s60                                // 000000005B20: D134004C 0000792C
	v_mov_b32_e32 v77, 0                                       // 000000005B28: 7E9A0280
	s_mul_i32 s60, s89, s71                                    // 000000005B2C: 923C4759
	v_add_u32_e64 v78, v44, s60                                // 000000005B30: D134004E 0000792C
	v_mov_b32_e32 v79, 0                                       // 000000005B38: 7E9E0280
	v_lshrrev_b32_e32 v44, 5, v0                               // 000000005B3C: 20580085
	v_lshlrev_b32_e32 v45, 6, v44                              // 000000005B40: 245A5886
	v_and_b32_e32 v44, 31, v0                                  // 000000005B44: 2658009F
	v_lshrrev_b32_e32 v46, 4, v44                              // 000000005B48: 205C5884
	v_add_u32_e32 v45, v46, v45                                // 000000005B4C: 685A5B2E
	v_and_b32_e32 v44, 15, v0                                  // 000000005B50: 2658008F
	v_lshlrev_b32_e32 v44, 1, v44                              // 000000005B54: 24585881
	v_add_u32_e32 v45, v44, v45                                // 000000005B58: 685A5B2C
	v_lshlrev_b32_e32 v44, 2, v45                              // 000000005B5C: 24585A82
	s_mov_b32 s60, 0                                           // 000000005B60: BEBC0080
	s_lshr_b32 s61, s7, 1                                      // 000000005B64: 8F3D8107
	s_mul_i32 s61, s61, 0x200                                  // 000000005B68: 923DFF3D 00000200
	s_add_u32 s60, s61, s60                                    // 000000005B70: 803C3C3D
	s_and_b32 s61, s7, 1                                       // 000000005B74: 863D8107
	s_mul_i32 s61, s61, 0x80                                   // 000000005B78: 923DFF3D 00000080
	s_add_u32 s60, s61, s60                                    // 000000005B80: 803C3C3D
	v_add_u32_e64 v44, v44, s60                                // 000000005B84: D134002C 0000792C
	ds_write_b32 v44, v144 offset:20992                        // 000000005B8C: D81A5200 0000902C
	ds_write_b32 v44, v145 offset:27136                        // 000000005B94: D81A6A00 0000912C
	ds_write_b32 v44, v146 offset:22016                        // 000000005B9C: D81A5600 0000922C
	ds_write_b32 v44, v147 offset:28160                        // 000000005BA4: D81A6E00 0000932C
	ds_write_b32 v44, v148 offset:23040                        // 000000005BAC: D81A5A00 0000942C
	ds_write_b32 v44, v149 offset:29184                        // 000000005BB4: D81A7200 0000952C
	ds_write_b32 v44, v150 offset:24064                        // 000000005BBC: D81A5E00 0000962C
	ds_write_b32 v44, v151 offset:30208                        // 000000005BC4: D81A7600 0000972C
	ds_write_b32 v44, v152 offset:25088                        // 000000005BCC: D81A6200 0000982C
	ds_write_b32 v44, v153 offset:31232                        // 000000005BD4: D81A7A00 0000992C
	ds_write_b32 v44, v154 offset:26112                        // 000000005BDC: D81A6600 00009A2C
	ds_write_b32 v44, v155 offset:32256                        // 000000005BE4: D81A7E00 00009B2C
	s_waitcnt lgkmcnt(0)                                       // 000000005BEC: BF8CC07F
	s_barrier                                                  // 000000005BF0: BF8A0000
	v_and_b32_e32 v44, 31, v0                                  // 000000005BF4: 2658009F
	v_lshrrev_b32_e32 v44, 4, v44                              // 000000005BF8: 20585884
	v_lshlrev_b32_e32 v45, 5, v44                              // 000000005BFC: 245A5885
	v_lshrrev_b32_e32 v44, 5, v0                               // 000000005C00: 20580085
	v_lshlrev_b32_e32 v44, 7, v44                              // 000000005C04: 24585887
	v_add_u32_e32 v45, v44, v45                                // 000000005C08: 685A5B2C
	v_and_b32_e32 v44, 15, v0                                  // 000000005C0C: 2658008F
	v_lshlrev_b32_e32 v44, 1, v44                              // 000000005C10: 24585881
	v_add_u32_e32 v45, v44, v45                                // 000000005C14: 685A5B2C
	v_lshlrev_b32_e32 v44, 2, v45                              // 000000005C18: 24585A82
	ds_read_b64 v[144:145], v44 offset:20992                   // 000000005C1C: D8EC5200 9000002C
	ds_read_b64 v[146:147], v44 offset:21248                   // 000000005C24: D8EC5300 9200002C
	ds_read_b64 v[148:149], v44 offset:22016                   // 000000005C2C: D8EC5600 9400002C
	ds_read_b64 v[150:151], v44 offset:22272                   // 000000005C34: D8EC5700 9600002C
	ds_read_b64 v[152:153], v44 offset:23040                   // 000000005C3C: D8EC5A00 9800002C
	ds_read_b64 v[154:155], v44 offset:23296                   // 000000005C44: D8EC5B00 9A00002C
	ds_read_b64 v[156:157], v44 offset:24064                   // 000000005C4C: D8EC5E00 9C00002C
	ds_read_b64 v[158:159], v44 offset:24320                   // 000000005C54: D8EC5F00 9E00002C
	ds_read_b64 v[160:161], v44 offset:25088                   // 000000005C5C: D8EC6200 A000002C
	ds_read_b64 v[162:163], v44 offset:25344                   // 000000005C64: D8EC6300 A200002C
	ds_read_b64 v[164:165], v44 offset:26112                   // 000000005C6C: D8EC6600 A400002C
	ds_read_b64 v[166:167], v44 offset:26368                   // 000000005C74: D8EC6700 A600002C
	ds_read_b64 v[168:169], v44 offset:27136                   // 000000005C7C: D8EC6A00 A800002C
	ds_read_b64 v[170:171], v44 offset:27392                   // 000000005C84: D8EC6B00 AA00002C
	ds_read_b64 v[172:173], v44 offset:28160                   // 000000005C8C: D8EC6E00 AC00002C
	ds_read_b64 v[174:175], v44 offset:28416                   // 000000005C94: D8EC6F00 AE00002C
	ds_read_b64 v[176:177], v44 offset:29184                   // 000000005C9C: D8EC7200 B000002C
	ds_read_b64 v[178:179], v44 offset:29440                   // 000000005CA4: D8EC7300 B200002C
	ds_read_b64 v[180:181], v44 offset:30208                   // 000000005CAC: D8EC7600 B400002C
	ds_read_b64 v[182:183], v44 offset:30464                   // 000000005CB4: D8EC7700 B600002C
	ds_read_b64 v[184:185], v44 offset:31232                   // 000000005CBC: D8EC7A00 B800002C
	ds_read_b64 v[186:187], v44 offset:31488                   // 000000005CC4: D8EC7B00 BA00002C
	ds_read_b64 v[188:189], v44 offset:32256                   // 000000005CCC: D8EC7E00 BC00002C
	ds_read_b64 v[190:191], v44 offset:32512                   // 000000005CD4: D8EC7F00 BE00002C
	s_add_u32 s12, s56, s12                                    // 000000005CDC: 800C0C38
	s_addc_u32 s13, 0, s13                                     // 000000005CE0: 820D0D80
	s_add_u32 s16, s79, s16                                    // 000000005CE4: 8010104F
	s_addc_u32 s17, 0, s17                                     // 000000005CE8: 82111180
	s_waitcnt lgkmcnt(0)                                       // 000000005CEC: BF8CC07F
	s_barrier                                                  // 000000005CF0: BF8A0000
	v_mov_b32_e32 v192, 0                                      // 000000005CF4: 7F800280
	v_mov_b32_e32 v224, 0                                      // 000000005CF8: 7FC00280
	v_mov_b32_e32 v193, 0                                      // 000000005CFC: 7F820280
	v_mov_b32_e32 v225, 0                                      // 000000005D00: 7FC20280
	v_mov_b32_e32 v194, 0                                      // 000000005D04: 7F840280
	v_mov_b32_e32 v226, 0                                      // 000000005D08: 7FC40280
	v_mov_b32_e32 v195, 0                                      // 000000005D0C: 7F860280
	v_mov_b32_e32 v227, 0                                      // 000000005D10: 7FC60280
	v_mov_b32_e32 v196, 0                                      // 000000005D14: 7F880280
	v_mov_b32_e32 v228, 0                                      // 000000005D18: 7FC80280
	v_mov_b32_e32 v197, 0                                      // 000000005D1C: 7F8A0280
	v_mov_b32_e32 v229, 0                                      // 000000005D20: 7FCA0280
	v_mov_b32_e32 v198, 0                                      // 000000005D24: 7F8C0280
	v_mov_b32_e32 v230, 0                                      // 000000005D28: 7FCC0280
	v_mov_b32_e32 v199, 0                                      // 000000005D2C: 7F8E0280
	v_mov_b32_e32 v231, 0                                      // 000000005D30: 7FCE0280
	v_mov_b32_e32 v200, 0                                      // 000000005D34: 7F900280
	v_mov_b32_e32 v232, 0                                      // 000000005D38: 7FD00280
	v_mov_b32_e32 v201, 0                                      // 000000005D3C: 7F920280
	v_mov_b32_e32 v233, 0                                      // 000000005D40: 7FD20280
	v_mov_b32_e32 v202, 0                                      // 000000005D44: 7F940280
	v_mov_b32_e32 v234, 0                                      // 000000005D48: 7FD40280
	v_mov_b32_e32 v203, 0                                      // 000000005D4C: 7F960280
	v_mov_b32_e32 v235, 0                                      // 000000005D50: 7FD60280
	v_mov_b32_e32 v204, 0                                      // 000000005D54: 7F980280
	v_mov_b32_e32 v236, 0                                      // 000000005D58: 7FD80280
	v_mov_b32_e32 v205, 0                                      // 000000005D5C: 7F9A0280
	v_mov_b32_e32 v237, 0                                      // 000000005D60: 7FDA0280
	v_mov_b32_e32 v206, 0                                      // 000000005D64: 7F9C0280
	v_mov_b32_e32 v238, 0                                      // 000000005D68: 7FDC0280
	v_mov_b32_e32 v207, 0                                      // 000000005D6C: 7F9E0280
	v_mov_b32_e32 v239, 0                                      // 000000005D70: 7FDE0280
	ds_write_b64 v3, v[192:193] offset:20992                   // 000000005D74: D89A5200 0000C003
	ds_write_b64 v3, v[194:195] offset:29696                   // 000000005D7C: D89A7400 0000C203
	ds_write_b64 v3, v[196:197] offset:23168                   // 000000005D84: D89A5A80 0000C403
	ds_write_b64 v3, v[198:199] offset:31872                   // 000000005D8C: D89A7C80 0000C603
	ds_write_b64 v3, v[200:201] offset:25344                   // 000000005D94: D89A6300 0000C803
	ds_write_b64 v3, v[202:203] offset:34048                   // 000000005D9C: D89A8500 0000CA03
	ds_write_b64 v3, v[204:205] offset:27520                   // 000000005DA4: D89A6B80 0000CC03
	ds_write_b64 v3, v[206:207] offset:36224                   // 000000005DAC: D89A8D80 0000CE03
	s_mov_b32 s80, 0                                           // 000000005DB4: BED00080
	s_waitcnt vmcnt(0) expcnt(0) lgkmcnt(0)                    // 000000005DB8: BF8C0000

0000000000005dbc <label_0BEF>:
	v_mov_b32_e32 v141, 0xffff0000                             // 000000005DBC: 7F1A02FF FFFF0000
	v_mov_b32_e32 v142, 0x7fff0000                             // 000000005DC4: 7F1C02FF 7FFF0000
	v_mov_b32_e32 v143, 0x7fff                                 // 000000005DCC: 7F1E02FF 00007FFF
	s_waitcnt vmcnt(20) lgkmcnt(0)                             // 000000005DD4: BF8C4074
	s_barrier                                                  // 000000005DD8: BF8A0000
	v_mfma_f32_16x16x128_f8f6f4 v[192:195], a[0:7], v[144:151], 0// 000000005DDC: D3AD00C0 0A032100
	ds_read_b32 v48, v4 offset:20992                           // 000000005DE4: D86C5200 30000004
	ds_read_b32 v49, v4 offset:25344                           // 000000005DEC: D86C6300 31000004
	ds_read_b32 v50, v4 offset:21000                           // 000000005DF4: D86C5208 32000004
	ds_read_b32 v51, v4 offset:25352                           // 000000005DFC: D86C6308 33000004
	v_mfma_f32_16x16x128_f8f6f4 v[196:199], a[0:7], v[168:175], 0// 000000005E04: D3AD00C4 0A035100
	buffer_load_dwordx4 a[96:99], v40, s[12:15], 0 offen       // 000000005E0C: E05C1000 80836028
	buffer_load_dwordx4 a[100:103], v40, s[12:15], 0 offen offset:1024// 000000005E14: E05C1400 80836428
	v_mfma_f32_16x16x128_f8f6f4 v[200:203], a[8:15], v[144:151], 0// 000000005E1C: D3AD00C8 0A032108
	ds_read_b32 v52, v4 offset:21024                           // 000000005E24: D86C5220 34000004
	ds_read_b32 v53, v4 offset:25376                           // 000000005E2C: D86C6320 35000004
	ds_read_b32 v54, v4 offset:21032                           // 000000005E34: D86C5228 36000004
	ds_read_b32 v55, v4 offset:25384                           // 000000005E3C: D86C6328 37000004
	v_mfma_f32_16x16x128_f8f6f4 v[204:207], a[8:15], v[168:175], 0// 000000005E44: D3AD00CC 0A035108
	buffer_load_dwordx4 a[104:107], v41, s[12:15], 0 offen     // 000000005E4C: E05C1000 80836829
	buffer_load_dwordx4 a[108:111], v41, s[12:15], 0 offen offset:1024// 000000005E54: E05C1400 80836C29
	buffer_load_dword v23, v5, s[16:19], 0 offen               // 000000005E5C: E0501000 80041705
	s_waitcnt vmcnt(21)                                        // 000000005E64: BF8C4F75
	v_mfma_f32_16x16x128_f8f6f4 v[208:211], a[16:23], v[144:151], 0// 000000005E68: D3AD00D0 0A032110
	ds_read_b32 v56, v4 offset:29696                           // 000000005E70: D86C7400 38000004
	ds_read_b32 v57, v4 offset:34048                           // 000000005E78: D86C8500 39000004
	ds_read_b32 v58, v4 offset:29704                           // 000000005E80: D86C7408 3A000004
	ds_read_b32 v59, v4 offset:34056                           // 000000005E88: D86C8508 3B000004
	v_mfma_f32_16x16x128_f8f6f4 v[212:215], a[16:23], v[168:175], 0// 000000005E90: D3AD00D4 0A035110
	buffer_load_dwordx4 a[112:115], v42, s[12:15], 0 offen     // 000000005E98: E05C1000 8083702A
	buffer_load_dwordx4 a[116:119], v42, s[12:15], 0 offen offset:1024// 000000005EA0: E05C1400 8083742A
	v_mfma_f32_16x16x128_f8f6f4 v[216:219], a[24:31], v[144:151], 0// 000000005EA8: D3AD00D8 0A032118
	ds_read_b32 v60, v4 offset:29728                           // 000000005EB0: D86C7420 3C000004
	ds_read_b32 v61, v4 offset:34080                           // 000000005EB8: D86C8520 3D000004
	ds_read_b32 v62, v4 offset:29736                           // 000000005EC0: D86C7428 3E000004
	ds_read_b32 v63, v4 offset:34088                           // 000000005EC8: D86C8528 3F000004
	v_mfma_f32_16x16x128_f8f6f4 v[220:223], a[24:31], v[168:175], 0// 000000005ED0: D3AD00DC 0A035118
	buffer_load_dwordx4 a[120:123], v43, s[12:15], 0 offen     // 000000005ED8: E05C1000 8083782B
	buffer_load_dwordx4 a[124:127], v43, s[12:15], 0 offen offset:1024// 000000005EE0: E05C1400 80837C2B
	s_add_u32 s12, s78, s12                                    // 000000005EE8: 800C0C4E
	s_addc_u32 s13, 0, s13                                     // 000000005EEC: 820D0D80
	v_mul_f32_dpp v44, v22, v134 row_newbcast:0 row_mask:0xf bank_mask:0xf// 000000005EF0: 0A590CFA FF015016
	v_mov_b32_e32 v45, v44                                     // 000000005EF8: 7E5A032C
	v_pk_mul_f32 v[192:193], v[44:45], v[192:193]              // 000000005EFC: D3B140C0 1803812C
	v_pk_mul_f32 v[194:195], v[44:45], v[194:195]              // 000000005F04: D3B140C2 1803852C
	v_pk_mul_f32 v[200:201], v[44:45], v[200:201]              // 000000005F0C: D3B140C8 1803912C
	v_pk_mul_f32 v[202:203], v[44:45], v[202:203]              // 000000005F14: D3B140CA 1803952C
	v_mul_f32_dpp v44, v22, v134 row_newbcast:1 row_mask:0xf bank_mask:0xf// 000000005F1C: 0A590CFA FF015116
	v_mov_b32_e32 v45, v44                                     // 000000005F24: 7E5A032C
	v_pk_mul_f32 v[208:209], v[44:45], v[208:209]              // 000000005F28: D3B140D0 1803A12C
	v_pk_mul_f32 v[210:211], v[44:45], v[210:211]              // 000000005F30: D3B140D2 1803A52C
	v_pk_mul_f32 v[216:217], v[44:45], v[216:217]              // 000000005F38: D3B140D8 1803B12C
	v_pk_mul_f32 v[218:219], v[44:45], v[218:219]              // 000000005F40: D3B140DA 1803B52C
	v_mul_f32_dpp v44, v22, v135 row_newbcast:0 row_mask:0xf bank_mask:0xf// 000000005F48: 0A590EFA FF015016
	v_mov_b32_e32 v45, v44                                     // 000000005F50: 7E5A032C
	v_pk_mul_f32 v[196:197], v[44:45], v[196:197]              // 000000005F54: D3B140C4 1803892C
	v_pk_mul_f32 v[198:199], v[44:45], v[198:199]              // 000000005F5C: D3B140C6 18038D2C
	v_pk_mul_f32 v[204:205], v[44:45], v[204:205]              // 000000005F64: D3B140CC 1803992C
	v_pk_mul_f32 v[206:207], v[44:45], v[206:207]              // 000000005F6C: D3B140CE 18039D2C
	v_mul_f32_dpp v44, v22, v135 row_newbcast:1 row_mask:0xf bank_mask:0xf// 000000005F74: 0A590EFA FF015116
	v_mov_b32_e32 v45, v44                                     // 000000005F7C: 7E5A032C
	v_pk_mul_f32 v[212:213], v[44:45], v[212:213]              // 000000005F80: D3B140D4 1803A92C
	v_pk_mul_f32 v[214:215], v[44:45], v[214:215]              // 000000005F88: D3B140D6 1803AD2C
	v_pk_mul_f32 v[220:221], v[44:45], v[220:221]              // 000000005F90: D3B140DC 1803B92C
	v_pk_mul_f32 v[222:223], v[44:45], v[222:223]              // 000000005F98: D3B140DE 1803BD2C
	s_waitcnt vmcnt(21)                                        // 000000005FA0: BF8C4F75
	v_mfma_f32_16x16x128_f8f6f4 v[96:99], a[32:39], v[152:159], 0// 000000005FA4: D3AD0060 0A033120
	ds_write_b64 v3, v[224:225] offset:38400                   // 000000005FAC: D89A9600 0000E003
	ds_write_b64 v3, v[226:227] offset:47104                   // 000000005FB4: D89AB800 0000E203
	v_mfma_f32_16x16x128_f8f6f4 v[100:103], a[32:39], v[176:183], 0// 000000005FBC: D3AD0064 0A036120
	buffer_load_dwordx4 a[128:131], v40, s[12:15], 0 offen     // 000000005FC4: E05C1000 80838028
	buffer_load_dwordx4 a[132:135], v40, s[12:15], 0 offen offset:1024// 000000005FCC: E05C1400 80838428
	v_mfma_f32_16x16x128_f8f6f4 v[104:107], a[40:47], v[152:159], 0// 000000005FD4: D3AD0068 0A033128
	ds_write_b64 v3, v[228:229] offset:40576                   // 000000005FDC: D89A9E80 0000E403
	ds_write_b64 v3, v[230:231] offset:49280                   // 000000005FE4: D89AC080 0000E603
	v_mfma_f32_16x16x128_f8f6f4 v[108:111], a[40:47], v[176:183], 0// 000000005FEC: D3AD006C 0A036128
	buffer_load_dwordx4 a[136:139], v41, s[12:15], 0 offen     // 000000005FF4: E05C1000 80838829
	buffer_load_dwordx4 a[140:143], v41, s[12:15], 0 offen offset:1024// 000000005FFC: E05C1400 80838C29
	s_waitcnt vmcnt(21)                                        // 000000006004: BF8C4F75
	v_mfma_f32_16x16x128_f8f6f4 v[112:115], a[48:55], v[152:159], 0// 000000006008: D3AD0070 0A033130
	ds_write_b64 v3, v[232:233] offset:42752                   // 000000006010: D89AA700 0000E803
	ds_write_b64 v3, v[234:235] offset:51456                   // 000000006018: D89AC900 0000EA03
	v_mfma_f32_16x16x128_f8f6f4 v[116:119], a[48:55], v[176:183], 0// 000000006020: D3AD0074 0A036130
	buffer_load_dwordx4 a[144:147], v42, s[12:15], 0 offen     // 000000006028: E05C1000 8083902A
	buffer_load_dwordx4 a[148:151], v42, s[12:15], 0 offen offset:1024// 000000006030: E05C1400 8083942A
	v_mfma_f32_16x16x128_f8f6f4 v[120:123], a[56:63], v[152:159], 0// 000000006038: D3AD0078 0A033138
	ds_write_b64 v3, v[236:237] offset:44928                   // 000000006040: D89AAF80 0000EC03
	ds_write_b64 v3, v[238:239] offset:53632                   // 000000006048: D89AD180 0000EE03
	v_mfma_f32_16x16x128_f8f6f4 v[124:127], a[56:63], v[176:183], 0// 000000006050: D3AD007C 0A036138
	buffer_load_dwordx4 a[152:155], v43, s[12:15], 0 offen     // 000000006058: E05C1000 8083982B
	buffer_load_dwordx4 a[156:159], v43, s[12:15], 0 offen offset:1024// 000000006060: E05C1400 80839C2B
	s_add_u32 s12, s78, s12                                    // 000000006068: 800C0C4E
	s_addc_u32 s13, 0, s13                                     // 00000000606C: 820D0D80
	v_mul_f32_dpp v44, v22, v136 row_newbcast:2 row_mask:0xf bank_mask:0xf// 000000006070: 0A5910FA FF015216
	v_mov_b32_e32 v45, v44                                     // 000000006078: 7E5A032C
	v_pk_fma_f32 v[192:193], v[96:97], v[44:45], v[192:193]    // 00000000607C: D3B040C0 1F025960
	v_pk_fma_f32 v[194:195], v[98:99], v[44:45], v[194:195]    // 000000006084: D3B040C2 1F0A5962
	v_pk_fma_f32 v[200:201], v[104:105], v[44:45], v[200:201]  // 00000000608C: D3B040C8 1F225968
	v_pk_fma_f32 v[202:203], v[106:107], v[44:45], v[202:203]  // 000000006094: D3B040CA 1F2A596A
	v_mul_f32_dpp v44, v22, v136 row_newbcast:3 row_mask:0xf bank_mask:0xf// 00000000609C: 0A5910FA FF015316
	v_mov_b32_e32 v45, v44                                     // 0000000060A4: 7E5A032C
	v_pk_fma_f32 v[208:209], v[112:113], v[44:45], v[208:209]  // 0000000060A8: D3B040D0 1F425970
	v_pk_fma_f32 v[210:211], v[114:115], v[44:45], v[210:211]  // 0000000060B0: D3B040D2 1F4A5972
	v_pk_fma_f32 v[216:217], v[120:121], v[44:45], v[216:217]  // 0000000060B8: D3B040D8 1F625978
	v_pk_fma_f32 v[218:219], v[122:123], v[44:45], v[218:219]  // 0000000060C0: D3B040DA 1F6A597A
	v_mul_f32_dpp v44, v22, v137 row_newbcast:2 row_mask:0xf bank_mask:0xf// 0000000060C8: 0A5912FA FF015216
	v_mov_b32_e32 v45, v44                                     // 0000000060D0: 7E5A032C
	v_pk_fma_f32 v[196:197], v[100:101], v[44:45], v[196:197]  // 0000000060D4: D3B040C4 1F125964
	v_pk_fma_f32 v[198:199], v[102:103], v[44:45], v[198:199]  // 0000000060DC: D3B040C6 1F1A5966
	v_pk_fma_f32 v[204:205], v[108:109], v[44:45], v[204:205]  // 0000000060E4: D3B040CC 1F32596C
	v_pk_fma_f32 v[206:207], v[110:111], v[44:45], v[206:207]  // 0000000060EC: D3B040CE 1F3A596E
	v_mul_f32_dpp v44, v22, v137 row_newbcast:3 row_mask:0xf bank_mask:0xf// 0000000060F4: 0A5912FA FF015316
	v_mov_b32_e32 v45, v44                                     // 0000000060FC: 7E5A032C
	v_pk_fma_f32 v[212:213], v[116:117], v[44:45], v[212:213]  // 000000006100: D3B040D4 1F525974
	v_pk_fma_f32 v[214:215], v[118:119], v[44:45], v[214:215]  // 000000006108: D3B040D6 1F5A5976
	v_pk_fma_f32 v[220:221], v[124:125], v[44:45], v[220:221]  // 000000006110: D3B040DC 1F72597C
	v_pk_fma_f32 v[222:223], v[126:127], v[44:45], v[222:223]  // 000000006118: D3B040DE 1F7A597E
	s_waitcnt vmcnt(21)                                        // 000000006120: BF8C4F75
	v_mfma_f32_16x16x128_f8f6f4 v[96:99], a[64:71], v[160:167], 0// 000000006124: D3AD0060 0A034140
	v_mfma_f32_16x16x128_f8f6f4 v[100:103], a[64:71], v[184:191], 0// 00000000612C: D3AD0064 0A037140
	buffer_load_dwordx4 a[160:163], v40, s[12:15], 0 offen     // 000000006134: E05C1000 8083A028
	buffer_load_dwordx4 a[164:167], v40, s[12:15], 0 offen offset:1024// 00000000613C: E05C1400 8083A428
	v_mfma_f32_16x16x128_f8f6f4 v[104:107], a[72:79], v[160:167], 0// 000000006144: D3AD0068 0A034148
	v_mfma_f32_16x16x128_f8f6f4 v[108:111], a[72:79], v[184:191], 0// 00000000614C: D3AD006C 0A037148
	buffer_load_dwordx4 a[168:171], v41, s[12:15], 0 offen     // 000000006154: E05C1000 8083A829
	buffer_load_dwordx4 a[172:175], v41, s[12:15], 0 offen offset:1024// 00000000615C: E05C1400 8083AC29
	s_waitcnt vmcnt(21)                                        // 000000006164: BF8C4F75
	v_mfma_f32_16x16x128_f8f6f4 v[112:115], a[80:87], v[160:167], 0// 000000006168: D3AD0070 0A034150
	v_mfma_f32_16x16x128_f8f6f4 v[116:119], a[80:87], v[184:191], 0// 000000006170: D3AD0074 0A037150
	buffer_load_dwordx4 a[176:179], v42, s[12:15], 0 offen     // 000000006178: E05C1000 8083B02A
	buffer_load_dwordx4 a[180:183], v42, s[12:15], 0 offen offset:1024// 000000006180: E05C1400 8083B42A
	v_mfma_f32_16x16x128_f8f6f4 v[120:123], a[88:95], v[160:167], 0// 000000006188: D3AD0078 0A034158
	v_mfma_f32_16x16x128_f8f6f4 v[124:127], a[88:95], v[184:191], 0// 000000006190: D3AD007C 0A037158
	buffer_load_dwordx4 a[184:187], v43, s[12:15], 0 offen     // 000000006198: E05C1000 8083B82B
	buffer_load_dwordx4 a[188:191], v43, s[12:15], 0 offen offset:1024// 0000000061A0: E05C1400 8083BC2B
	v_mul_f32_dpp v44, v22, v138 row_newbcast:4 row_mask:0xf bank_mask:0xf// 0000000061A8: 0A5914FA FF015416
	v_mov_b32_e32 v45, v44                                     // 0000000061B0: 7E5A032C
	v_pk_fma_f32 v[192:193], v[96:97], v[44:45], v[192:193]    // 0000000061B4: D3B040C0 1F025960
	v_pk_fma_f32 v[194:195], v[98:99], v[44:45], v[194:195]    // 0000000061BC: D3B040C2 1F0A5962
	v_pk_fma_f32 v[200:201], v[104:105], v[44:45], v[200:201]  // 0000000061C4: D3B040C8 1F225968
	v_pk_fma_f32 v[202:203], v[106:107], v[44:45], v[202:203]  // 0000000061CC: D3B040CA 1F2A596A
	v_mul_f32_dpp v44, v22, v138 row_newbcast:5 row_mask:0xf bank_mask:0xf// 0000000061D4: 0A5914FA FF015516
	v_mov_b32_e32 v45, v44                                     // 0000000061DC: 7E5A032C
	v_pk_fma_f32 v[208:209], v[112:113], v[44:45], v[208:209]  // 0000000061E0: D3B040D0 1F425970
	v_pk_fma_f32 v[210:211], v[114:115], v[44:45], v[210:211]  // 0000000061E8: D3B040D2 1F4A5972
	v_pk_fma_f32 v[216:217], v[120:121], v[44:45], v[216:217]  // 0000000061F0: D3B040D8 1F625978
	v_pk_fma_f32 v[218:219], v[122:123], v[44:45], v[218:219]  // 0000000061F8: D3B040DA 1F6A597A
	v_mul_f32_dpp v44, v22, v139 row_newbcast:4 row_mask:0xf bank_mask:0xf// 000000006200: 0A5916FA FF015416
	v_mov_b32_e32 v45, v44                                     // 000000006208: 7E5A032C
	v_pk_fma_f32 v[196:197], v[100:101], v[44:45], v[196:197]  // 00000000620C: D3B040C4 1F125964
	v_pk_fma_f32 v[198:199], v[102:103], v[44:45], v[198:199]  // 000000006214: D3B040C6 1F1A5966
	v_pk_fma_f32 v[204:205], v[108:109], v[44:45], v[204:205]  // 00000000621C: D3B040CC 1F32596C
	v_pk_fma_f32 v[206:207], v[110:111], v[44:45], v[206:207]  // 000000006224: D3B040CE 1F3A596E
	v_mul_f32_dpp v44, v22, v139 row_newbcast:5 row_mask:0xf bank_mask:0xf// 00000000622C: 0A5916FA FF015516
	v_mov_b32_e32 v45, v44                                     // 000000006234: 7E5A032C
	v_pk_fma_f32 v[212:213], v[116:117], v[44:45], v[212:213]  // 000000006238: D3B040D4 1F525974
	v_pk_fma_f32 v[214:215], v[118:119], v[44:45], v[214:215]  // 000000006240: D3B040D6 1F5A5976
	v_pk_fma_f32 v[220:221], v[124:125], v[44:45], v[220:221]  // 000000006248: D3B040DC 1F72597C
	v_pk_fma_f32 v[222:223], v[126:127], v[44:45], v[222:223]  // 000000006250: D3B040DE 1F7A597E
	s_add_u32 s60, 0x200, s80                                  // 000000006258: 803C50FF 00000200
	s_cmp_lt_u32 s60, s81                                      // 000000006260: BF0A513C
	s_cselect_b32 s56, s56, 0                                  // 000000006264: 85388038
	s_cselect_b32 s78, s78, 0                                  // 000000006268: 854E804E
	s_cselect_b32 s79, s79, 0                                  // 00000000626C: 854F804F
	s_add_u32 s12, s56, s12                                    // 000000006270: 800C0C38
	s_addc_u32 s13, 0, s13                                     // 000000006274: 820D0D80
	s_add_u32 s16, s79, s16                                    // 000000006278: 8010104F
	s_addc_u32 s17, 0, s17                                     // 00000000627C: 82111180
	v_mov_b32_e32 v44, v24                                     // 000000006280: 7E580318
	v_mov_b32_e32 v45, v24                                     // 000000006284: 7E5A0318
	v_pk_mul_f32 v[192:193], v[44:45], v[192:193]              // 000000006288: D3B140C0 1803812C
	v_pk_mul_f32 v[194:195], v[44:45], v[194:195]              // 000000006290: D3B140C2 1803852C
	v_pk_mul_f32 v[200:201], v[44:45], v[200:201]              // 000000006298: D3B140C8 1803912C
	v_pk_mul_f32 v[202:203], v[44:45], v[202:203]              // 0000000062A0: D3B140CA 1803952C
	v_pk_mul_f32 v[208:209], v[44:45], v[208:209]              // 0000000062A8: D3B140D0 1803A12C
	v_pk_mul_f32 v[210:211], v[44:45], v[210:211]              // 0000000062B0: D3B140D2 1803A52C
	v_pk_mul_f32 v[216:217], v[44:45], v[216:217]              // 0000000062B8: D3B140D8 1803B12C
	v_pk_mul_f32 v[218:219], v[44:45], v[218:219]              // 0000000062C0: D3B140DA 1803B52C
	v_mov_b32_e32 v44, v25                                     // 0000000062C8: 7E580319
	v_mov_b32_e32 v45, v25                                     // 0000000062CC: 7E5A0319
	v_pk_mul_f32 v[196:197], v[44:45], v[196:197]              // 0000000062D0: D3B140C4 1803892C
	v_pk_mul_f32 v[198:199], v[44:45], v[198:199]              // 0000000062D8: D3B140C6 18038D2C
	v_pk_mul_f32 v[204:205], v[44:45], v[204:205]              // 0000000062E0: D3B140CC 1803992C
	v_pk_mul_f32 v[206:207], v[44:45], v[206:207]              // 0000000062E8: D3B140CE 18039D2C
	v_pk_mul_f32 v[212:213], v[44:45], v[212:213]              // 0000000062F0: D3B140D4 1803A92C
	v_pk_mul_f32 v[214:215], v[44:45], v[214:215]              // 0000000062F8: D3B140D6 1803AD2C
	v_pk_mul_f32 v[220:221], v[44:45], v[220:221]              // 000000006300: D3B140DC 1803B92C
	v_pk_mul_f32 v[222:223], v[44:45], v[222:223]              // 000000006308: D3B140DE 1803BD2C
	v_cvt_pk_bf16_f32 v192, v192, v193                         // 000000006310: D26800C0 000383C0
	v_cvt_pk_bf16_f32 v193, v194, v195                         // 000000006318: D26800C1 000387C2
	v_cvt_pk_bf16_f32 v194, v196, v197                         // 000000006320: D26800C2 00038BC4
	v_cvt_pk_bf16_f32 v195, v198, v199                         // 000000006328: D26800C3 00038FC6
	v_cvt_pk_bf16_f32 v196, v200, v201                         // 000000006330: D26800C4 000393C8
	v_cvt_pk_bf16_f32 v197, v202, v203                         // 000000006338: D26800C5 000397CA
	v_cvt_pk_bf16_f32 v198, v204, v205                         // 000000006340: D26800C6 00039BCC
	v_cvt_pk_bf16_f32 v199, v206, v207                         // 000000006348: D26800C7 00039FCE
	v_cvt_pk_bf16_f32 v200, v208, v209                         // 000000006350: D26800C8 0003A3D0
	v_cvt_pk_bf16_f32 v201, v210, v211                         // 000000006358: D26800C9 0003A7D2
	v_cvt_pk_bf16_f32 v202, v212, v213                         // 000000006360: D26800CA 0003ABD4
	v_cvt_pk_bf16_f32 v203, v214, v215                         // 000000006368: D26800CB 0003AFD6
	v_cvt_pk_bf16_f32 v204, v216, v217                         // 000000006370: D26800CC 0003B3D8
	v_cvt_pk_bf16_f32 v205, v218, v219                         // 000000006378: D26800CD 0003B7DA
	v_cvt_pk_bf16_f32 v206, v220, v221                         // 000000006380: D26800CE 0003BBDC
	v_cvt_pk_bf16_f32 v207, v222, v223                         // 000000006388: D26800CF 0003BFDE
	s_cmp_ge_u32 s80, 0x200                                    // 000000006390: BF09FF50 00000200
	s_cselect_b32 s59, 0x200, s59                              // 000000006398: 853B3BFF 00000200
	s_setvskip s20, 0                                          // 0000000063A0: BF108014
	global_atomic_pk_add_bf16 v64, v48, s[8:9]                 // 0000000063A4: DD488000 00083040
	s_setvskip 0, 0                                            // 0000000063AC: BF108080
	s_setvskip s20, 0                                          // 0000000063B0: BF108014
	global_atomic_pk_add_bf16 v64, v49, s[8:9] offset:256      // 0000000063B4: DD488100 00083140
	s_setvskip 0, 0                                            // 0000000063BC: BF108080
	s_setvskip s20, 1                                          // 0000000063C0: BF108114
	global_atomic_pk_add_bf16 v66, v50, s[8:9]                 // 0000000063C4: DD488000 00083242
	s_setvskip 0, 0                                            // 0000000063CC: BF108080
	s_setvskip s20, 1                                          // 0000000063D0: BF108114
	global_atomic_pk_add_bf16 v66, v51, s[8:9] offset:256      // 0000000063D4: DD488100 00083342
	s_setvskip 0, 0                                            // 0000000063DC: BF108080
	s_setvskip s20, 2                                          // 0000000063E0: BF108214
	global_atomic_pk_add_bf16 v68, v52, s[8:9]                 // 0000000063E4: DD488000 00083444
	s_setvskip 0, 0                                            // 0000000063EC: BF108080
	s_setvskip s20, 2                                          // 0000000063F0: BF108214
	global_atomic_pk_add_bf16 v68, v53, s[8:9] offset:256      // 0000000063F4: DD488100 00083544
	s_setvskip 0, 0                                            // 0000000063FC: BF108080
	s_setvskip s20, 3                                          // 000000006400: BF108314
	global_atomic_pk_add_bf16 v70, v54, s[8:9]                 // 000000006404: DD488000 00083646
	s_setvskip 0, 0                                            // 00000000640C: BF108080
	s_setvskip s20, 3                                          // 000000006410: BF108314
	global_atomic_pk_add_bf16 v70, v55, s[8:9] offset:256      // 000000006414: DD488100 00083746
	s_setvskip 0, 0                                            // 00000000641C: BF108080
	s_setvskip s20, 4                                          // 000000006420: BF108414
	global_atomic_pk_add_bf16 v72, v56, s[8:9]                 // 000000006424: DD488000 00083848
	s_setvskip 0, 0                                            // 00000000642C: BF108080
	s_setvskip s20, 4                                          // 000000006430: BF108414
	global_atomic_pk_add_bf16 v72, v57, s[8:9] offset:256      // 000000006434: DD488100 00083948
	s_setvskip 0, 0                                            // 00000000643C: BF108080
	s_setvskip s20, 5                                          // 000000006440: BF108514
	global_atomic_pk_add_bf16 v74, v58, s[8:9]                 // 000000006444: DD488000 00083A4A
	s_setvskip 0, 0                                            // 00000000644C: BF108080
	s_setvskip s20, 5                                          // 000000006450: BF108514
	global_atomic_pk_add_bf16 v74, v59, s[8:9] offset:256      // 000000006454: DD488100 00083B4A
	s_setvskip 0, 0                                            // 00000000645C: BF108080
	s_setvskip s20, 6                                          // 000000006460: BF108614
	global_atomic_pk_add_bf16 v76, v60, s[8:9]                 // 000000006464: DD488000 00083C4C
	s_setvskip 0, 0                                            // 00000000646C: BF108080
	s_setvskip s20, 6                                          // 000000006470: BF108614
	global_atomic_pk_add_bf16 v76, v61, s[8:9] offset:256      // 000000006474: DD488100 00083D4C
	s_setvskip 0, 0                                            // 00000000647C: BF108080
	s_setvskip s20, 7                                          // 000000006480: BF108714
	global_atomic_pk_add_bf16 v78, v62, s[8:9]                 // 000000006484: DD488000 00083E4E
	s_setvskip 0, 0                                            // 00000000648C: BF108080
	s_setvskip s20, 7                                          // 000000006490: BF108714
	global_atomic_pk_add_bf16 v78, v63, s[8:9] offset:256      // 000000006494: DD488100 00083F4E
	s_setvskip 0, 0                                            // 00000000649C: BF108080
	s_add_u32 s8, s59, s8                                      // 0000000064A0: 8008083B
	s_addc_u32 s9, 0, s9                                       // 0000000064A4: 82090980
	s_addk_i32 s80, 0x100                                      // 0000000064A8: B7500100
	s_cmp_lt_i32 s80, s81                                      // 0000000064AC: BF045150
	s_cbranch_scc0 label_0F66                                  // 0000000064B0: BF8401B9
	s_waitcnt vmcnt(20) lgkmcnt(0)                             // 0000000064B4: BF8C4074
	s_barrier                                                  // 0000000064B8: BF8A0000
	v_mfma_f32_16x16x128_f8f6f4 v[224:227], a[96:103], v[144:151], 0// 0000000064BC: D3AD00E0 0A032160
	ds_read_b32 v48, v4 offset:38400                           // 0000000064C4: D86C9600 30000004
	ds_read_b32 v49, v4 offset:42752                           // 0000000064CC: D86CA700 31000004
	ds_read_b32 v50, v4 offset:38408                           // 0000000064D4: D86C9608 32000004
	ds_read_b32 v51, v4 offset:42760                           // 0000000064DC: D86CA708 33000004
	v_mfma_f32_16x16x128_f8f6f4 v[228:231], a[96:103], v[168:175], 0// 0000000064E4: D3AD00E4 0A035160
	buffer_load_dwordx4 a[0:3], v40, s[12:15], 0 offen         // 0000000064EC: E05C1000 80830028
	buffer_load_dwordx4 a[4:7], v40, s[12:15], 0 offen offset:1024// 0000000064F4: E05C1400 80830428
	v_mfma_f32_16x16x128_f8f6f4 v[232:235], a[104:111], v[144:151], 0// 0000000064FC: D3AD00E8 0A032168
	ds_read_b32 v52, v4 offset:38432                           // 000000006504: D86C9620 34000004
	ds_read_b32 v53, v4 offset:42784                           // 00000000650C: D86CA720 35000004
	ds_read_b32 v54, v4 offset:38440                           // 000000006514: D86C9628 36000004
	ds_read_b32 v55, v4 offset:42792                           // 00000000651C: D86CA728 37000004
	v_mfma_f32_16x16x128_f8f6f4 v[236:239], a[104:111], v[168:175], 0// 000000006524: D3AD00EC 0A035168
	buffer_load_dwordx4 a[8:11], v41, s[12:15], 0 offen        // 00000000652C: E05C1000 80830829
	buffer_load_dwordx4 a[12:15], v41, s[12:15], 0 offen offset:1024// 000000006534: E05C1400 80830C29
	buffer_load_dword v22, v5, s[16:19], 0 offen               // 00000000653C: E0501000 80041605
	s_waitcnt vmcnt(21)                                        // 000000006544: BF8C4F75
	v_mfma_f32_16x16x128_f8f6f4 v[240:243], a[112:119], v[144:151], 0// 000000006548: D3AD00F0 0A032170
	ds_read_b32 v56, v4 offset:47104                           // 000000006550: D86CB800 38000004
	ds_read_b32 v57, v4 offset:51456                           // 000000006558: D86CC900 39000004
	ds_read_b32 v58, v4 offset:47112                           // 000000006560: D86CB808 3A000004
	ds_read_b32 v59, v4 offset:51464                           // 000000006568: D86CC908 3B000004
	v_mfma_f32_16x16x128_f8f6f4 v[244:247], a[112:119], v[168:175], 0// 000000006570: D3AD00F4 0A035170
	buffer_load_dwordx4 a[16:19], v42, s[12:15], 0 offen       // 000000006578: E05C1000 8083102A
	buffer_load_dwordx4 a[20:23], v42, s[12:15], 0 offen offset:1024// 000000006580: E05C1400 8083142A
	v_mfma_f32_16x16x128_f8f6f4 v[248:251], a[120:127], v[144:151], 0// 000000006588: D3AD00F8 0A032178
	ds_read_b32 v60, v4 offset:47136                           // 000000006590: D86CB820 3C000004
	ds_read_b32 v61, v4 offset:51488                           // 000000006598: D86CC920 3D000004
	ds_read_b32 v62, v4 offset:47144                           // 0000000065A0: D86CB828 3E000004
	ds_read_b32 v63, v4 offset:51496                           // 0000000065A8: D86CC928 3F000004
	v_mfma_f32_16x16x128_f8f6f4 v[252:255], a[120:127], v[168:175], 0// 0000000065B0: D3AD00FC 0A035178
	buffer_load_dwordx4 a[24:27], v43, s[12:15], 0 offen       // 0000000065B8: E05C1000 8083182B
	buffer_load_dwordx4 a[28:31], v43, s[12:15], 0 offen offset:1024// 0000000065C0: E05C1400 80831C2B
	s_add_u32 s12, s78, s12                                    // 0000000065C8: 800C0C4E
	s_addc_u32 s13, 0, s13                                     // 0000000065CC: 820D0D80
	v_mul_f32_dpp v44, v23, v134 row_newbcast:0 row_mask:0xf bank_mask:0xf// 0000000065D0: 0A590CFA FF015017
	v_mov_b32_e32 v45, v44                                     // 0000000065D8: 7E5A032C
	v_pk_mul_f32 v[224:225], v[44:45], v[224:225]              // 0000000065DC: D3B140E0 1803C12C
	v_pk_mul_f32 v[226:227], v[44:45], v[226:227]              // 0000000065E4: D3B140E2 1803C52C
	v_pk_mul_f32 v[232:233], v[44:45], v[232:233]              // 0000000065EC: D3B140E8 1803D12C
	v_pk_mul_f32 v[234:235], v[44:45], v[234:235]              // 0000000065F4: D3B140EA 1803D52C
	v_mul_f32_dpp v44, v23, v134 row_newbcast:1 row_mask:0xf bank_mask:0xf// 0000000065FC: 0A590CFA FF015117
	v_mov_b32_e32 v45, v44                                     // 000000006604: 7E5A032C
	v_pk_mul_f32 v[240:241], v[44:45], v[240:241]              // 000000006608: D3B140F0 1803E12C
	v_pk_mul_f32 v[242:243], v[44:45], v[242:243]              // 000000006610: D3B140F2 1803E52C
	v_pk_mul_f32 v[248:249], v[44:45], v[248:249]              // 000000006618: D3B140F8 1803F12C
	v_pk_mul_f32 v[250:251], v[44:45], v[250:251]              // 000000006620: D3B140FA 1803F52C
	v_mul_f32_dpp v44, v23, v135 row_newbcast:0 row_mask:0xf bank_mask:0xf// 000000006628: 0A590EFA FF015017
	v_mov_b32_e32 v45, v44                                     // 000000006630: 7E5A032C
	v_pk_mul_f32 v[228:229], v[44:45], v[228:229]              // 000000006634: D3B140E4 1803C92C
	v_pk_mul_f32 v[230:231], v[44:45], v[230:231]              // 00000000663C: D3B140E6 1803CD2C
	v_pk_mul_f32 v[236:237], v[44:45], v[236:237]              // 000000006644: D3B140EC 1803D92C
	v_pk_mul_f32 v[238:239], v[44:45], v[238:239]              // 00000000664C: D3B140EE 1803DD2C
	v_mul_f32_dpp v44, v23, v135 row_newbcast:1 row_mask:0xf bank_mask:0xf// 000000006654: 0A590EFA FF015117
	v_mov_b32_e32 v45, v44                                     // 00000000665C: 7E5A032C
	v_pk_mul_f32 v[244:245], v[44:45], v[244:245]              // 000000006660: D3B140F4 1803E92C
	v_pk_mul_f32 v[246:247], v[44:45], v[246:247]              // 000000006668: D3B140F6 1803ED2C
	v_pk_mul_f32 v[252:253], v[44:45], v[252:253]              // 000000006670: D3B140FC 1803F92C
	v_pk_mul_f32 v[254:255], v[44:45], v[254:255]              // 000000006678: D3B140FE 1803FD2C
	s_waitcnt vmcnt(21)                                        // 000000006680: BF8C4F75
	v_mfma_f32_16x16x128_f8f6f4 v[96:99], a[128:135], v[152:159], 0// 000000006684: D3AD0060 0A033180
	ds_write_b64 v3, v[192:193] offset:20992                   // 00000000668C: D89A5200 0000C003
	ds_write_b64 v3, v[194:195] offset:29696                   // 000000006694: D89A7400 0000C203
	v_mfma_f32_16x16x128_f8f6f4 v[100:103], a[128:135], v[176:183], 0// 00000000669C: D3AD0064 0A036180
	buffer_load_dwordx4 a[32:35], v40, s[12:15], 0 offen       // 0000000066A4: E05C1000 80832028
	buffer_load_dwordx4 a[36:39], v40, s[12:15], 0 offen offset:1024// 0000000066AC: E05C1400 80832428
	v_mfma_f32_16x16x128_f8f6f4 v[104:107], a[136:143], v[152:159], 0// 0000000066B4: D3AD0068 0A033188
	ds_write_b64 v3, v[196:197] offset:23168                   // 0000000066BC: D89A5A80 0000C403
	ds_write_b64 v3, v[198:199] offset:31872                   // 0000000066C4: D89A7C80 0000C603
	v_mfma_f32_16x16x128_f8f6f4 v[108:111], a[136:143], v[176:183], 0// 0000000066CC: D3AD006C 0A036188
	buffer_load_dwordx4 a[40:43], v41, s[12:15], 0 offen       // 0000000066D4: E05C1000 80832829
	buffer_load_dwordx4 a[44:47], v41, s[12:15], 0 offen offset:1024// 0000000066DC: E05C1400 80832C29
	s_waitcnt vmcnt(21)                                        // 0000000066E4: BF8C4F75
	v_mfma_f32_16x16x128_f8f6f4 v[112:115], a[144:151], v[152:159], 0// 0000000066E8: D3AD0070 0A033190
	ds_write_b64 v3, v[200:201] offset:25344                   // 0000000066F0: D89A6300 0000C803
	ds_write_b64 v3, v[202:203] offset:34048                   // 0000000066F8: D89A8500 0000CA03
	v_mfma_f32_16x16x128_f8f6f4 v[116:119], a[144:151], v[176:183], 0// 000000006700: D3AD0074 0A036190
	buffer_load_dwordx4 a[48:51], v42, s[12:15], 0 offen       // 000000006708: E05C1000 8083302A
	buffer_load_dwordx4 a[52:55], v42, s[12:15], 0 offen offset:1024// 000000006710: E05C1400 8083342A
	v_mfma_f32_16x16x128_f8f6f4 v[120:123], a[152:159], v[152:159], 0// 000000006718: D3AD0078 0A033198
	ds_write_b64 v3, v[204:205] offset:27520                   // 000000006720: D89A6B80 0000CC03
	ds_write_b64 v3, v[206:207] offset:36224                   // 000000006728: D89A8D80 0000CE03
	v_mfma_f32_16x16x128_f8f6f4 v[124:127], a[152:159], v[176:183], 0// 000000006730: D3AD007C 0A036198
	buffer_load_dwordx4 a[56:59], v43, s[12:15], 0 offen       // 000000006738: E05C1000 8083382B
	buffer_load_dwordx4 a[60:63], v43, s[12:15], 0 offen offset:1024// 000000006740: E05C1400 80833C2B
	s_add_u32 s12, s78, s12                                    // 000000006748: 800C0C4E
	s_addc_u32 s13, 0, s13                                     // 00000000674C: 820D0D80
	v_mul_f32_dpp v44, v23, v136 row_newbcast:2 row_mask:0xf bank_mask:0xf// 000000006750: 0A5910FA FF015217
	v_mov_b32_e32 v45, v44                                     // 000000006758: 7E5A032C
	v_pk_fma_f32 v[224:225], v[96:97], v[44:45], v[224:225]    // 00000000675C: D3B040E0 1F825960
	v_pk_fma_f32 v[226:227], v[98:99], v[44:45], v[226:227]    // 000000006764: D3B040E2 1F8A5962
	v_pk_fma_f32 v[232:233], v[104:105], v[44:45], v[232:233]  // 00000000676C: D3B040E8 1FA25968
	v_pk_fma_f32 v[234:235], v[106:107], v[44:45], v[234:235]  // 000000006774: D3B040EA 1FAA596A
	v_mul_f32_dpp v44, v23, v136 row_newbcast:3 row_mask:0xf bank_mask:0xf// 00000000677C: 0A5910FA FF015317
	v_mov_b32_e32 v45, v44                                     // 000000006784: 7E5A032C
	v_pk_fma_f32 v[240:241], v[112:113], v[44:45], v[240:241]  // 000000006788: D3B040F0 1FC25970
	v_pk_fma_f32 v[242:243], v[114:115], v[44:45], v[242:243]  // 000000006790: D3B040F2 1FCA5972
	v_pk_fma_f32 v[248:249], v[120:121], v[44:45], v[248:249]  // 000000006798: D3B040F8 1FE25978
	v_pk_fma_f32 v[250:251], v[122:123], v[44:45], v[250:251]  // 0000000067A0: D3B040FA 1FEA597A
	v_mul_f32_dpp v44, v23, v137 row_newbcast:2 row_mask:0xf bank_mask:0xf// 0000000067A8: 0A5912FA FF015217
	v_mov_b32_e32 v45, v44                                     // 0000000067B0: 7E5A032C
	v_pk_fma_f32 v[228:229], v[100:101], v[44:45], v[228:229]  // 0000000067B4: D3B040E4 1F925964
	v_pk_fma_f32 v[230:231], v[102:103], v[44:45], v[230:231]  // 0000000067BC: D3B040E6 1F9A5966
	v_pk_fma_f32 v[236:237], v[108:109], v[44:45], v[236:237]  // 0000000067C4: D3B040EC 1FB2596C
	v_pk_fma_f32 v[238:239], v[110:111], v[44:45], v[238:239]  // 0000000067CC: D3B040EE 1FBA596E
	v_mul_f32_dpp v44, v23, v137 row_newbcast:3 row_mask:0xf bank_mask:0xf// 0000000067D4: 0A5912FA FF015317
	v_mov_b32_e32 v45, v44                                     // 0000000067DC: 7E5A032C
	v_pk_fma_f32 v[244:245], v[116:117], v[44:45], v[244:245]  // 0000000067E0: D3B040F4 1FD25974
	v_pk_fma_f32 v[246:247], v[118:119], v[44:45], v[246:247]  // 0000000067E8: D3B040F6 1FDA5976
	v_pk_fma_f32 v[252:253], v[124:125], v[44:45], v[252:253]  // 0000000067F0: D3B040FC 1FF2597C
	v_pk_fma_f32 v[254:255], v[126:127], v[44:45], v[254:255]  // 0000000067F8: D3B040FE 1FFA597E
	s_waitcnt vmcnt(21)                                        // 000000006800: BF8C4F75
	v_mfma_f32_16x16x128_f8f6f4 v[96:99], a[160:167], v[160:167], 0// 000000006804: D3AD0060 0A0341A0
	v_mfma_f32_16x16x128_f8f6f4 v[100:103], a[160:167], v[184:191], 0// 00000000680C: D3AD0064 0A0371A0
	buffer_load_dwordx4 a[64:67], v40, s[12:15], 0 offen       // 000000006814: E05C1000 80834028
	buffer_load_dwordx4 a[68:71], v40, s[12:15], 0 offen offset:1024// 00000000681C: E05C1400 80834428
	v_mfma_f32_16x16x128_f8f6f4 v[104:107], a[168:175], v[160:167], 0// 000000006824: D3AD0068 0A0341A8
	v_mfma_f32_16x16x128_f8f6f4 v[108:111], a[168:175], v[184:191], 0// 00000000682C: D3AD006C 0A0371A8
	buffer_load_dwordx4 a[72:75], v41, s[12:15], 0 offen       // 000000006834: E05C1000 80834829
	buffer_load_dwordx4 a[76:79], v41, s[12:15], 0 offen offset:1024// 00000000683C: E05C1400 80834C29
	s_waitcnt vmcnt(21)                                        // 000000006844: BF8C4F75
	v_mfma_f32_16x16x128_f8f6f4 v[112:115], a[176:183], v[160:167], 0// 000000006848: D3AD0070 0A0341B0
	v_mfma_f32_16x16x128_f8f6f4 v[116:119], a[176:183], v[184:191], 0// 000000006850: D3AD0074 0A0371B0
	buffer_load_dwordx4 a[80:83], v42, s[12:15], 0 offen       // 000000006858: E05C1000 8083502A
	buffer_load_dwordx4 a[84:87], v42, s[12:15], 0 offen offset:1024// 000000006860: E05C1400 8083542A
	v_mfma_f32_16x16x128_f8f6f4 v[120:123], a[184:191], v[160:167], 0// 000000006868: D3AD0078 0A0341B8
	v_mfma_f32_16x16x128_f8f6f4 v[124:127], a[184:191], v[184:191], 0// 000000006870: D3AD007C 0A0371B8
	buffer_load_dwordx4 a[88:91], v43, s[12:15], 0 offen       // 000000006878: E05C1000 8083582B
	buffer_load_dwordx4 a[92:95], v43, s[12:15], 0 offen offset:1024// 000000006880: E05C1400 80835C2B
	v_mul_f32_dpp v44, v23, v138 row_newbcast:4 row_mask:0xf bank_mask:0xf// 000000006888: 0A5914FA FF015417
	v_mov_b32_e32 v45, v44                                     // 000000006890: 7E5A032C
	v_pk_fma_f32 v[224:225], v[96:97], v[44:45], v[224:225]    // 000000006894: D3B040E0 1F825960
	v_pk_fma_f32 v[226:227], v[98:99], v[44:45], v[226:227]    // 00000000689C: D3B040E2 1F8A5962
	v_pk_fma_f32 v[232:233], v[104:105], v[44:45], v[232:233]  // 0000000068A4: D3B040E8 1FA25968
	v_pk_fma_f32 v[234:235], v[106:107], v[44:45], v[234:235]  // 0000000068AC: D3B040EA 1FAA596A
	v_mul_f32_dpp v44, v23, v138 row_newbcast:5 row_mask:0xf bank_mask:0xf// 0000000068B4: 0A5914FA FF015517
	v_mov_b32_e32 v45, v44                                     // 0000000068BC: 7E5A032C
	v_pk_fma_f32 v[240:241], v[112:113], v[44:45], v[240:241]  // 0000000068C0: D3B040F0 1FC25970
	v_pk_fma_f32 v[242:243], v[114:115], v[44:45], v[242:243]  // 0000000068C8: D3B040F2 1FCA5972
	v_pk_fma_f32 v[248:249], v[120:121], v[44:45], v[248:249]  // 0000000068D0: D3B040F8 1FE25978
	v_pk_fma_f32 v[250:251], v[122:123], v[44:45], v[250:251]  // 0000000068D8: D3B040FA 1FEA597A
	v_mul_f32_dpp v44, v23, v139 row_newbcast:4 row_mask:0xf bank_mask:0xf// 0000000068E0: 0A5916FA FF015417
	v_mov_b32_e32 v45, v44                                     // 0000000068E8: 7E5A032C
	v_pk_fma_f32 v[228:229], v[100:101], v[44:45], v[228:229]  // 0000000068EC: D3B040E4 1F925964
	v_pk_fma_f32 v[230:231], v[102:103], v[44:45], v[230:231]  // 0000000068F4: D3B040E6 1F9A5966
	v_pk_fma_f32 v[236:237], v[108:109], v[44:45], v[236:237]  // 0000000068FC: D3B040EC 1FB2596C
	v_pk_fma_f32 v[238:239], v[110:111], v[44:45], v[238:239]  // 000000006904: D3B040EE 1FBA596E
	v_mul_f32_dpp v44, v23, v139 row_newbcast:5 row_mask:0xf bank_mask:0xf// 00000000690C: 0A5916FA FF015517
	v_mov_b32_e32 v45, v44                                     // 000000006914: 7E5A032C
	v_pk_fma_f32 v[244:245], v[116:117], v[44:45], v[244:245]  // 000000006918: D3B040F4 1FD25974
	v_pk_fma_f32 v[246:247], v[118:119], v[44:45], v[246:247]  // 000000006920: D3B040F6 1FDA5976
	v_pk_fma_f32 v[252:253], v[124:125], v[44:45], v[252:253]  // 000000006928: D3B040FC 1FF2597C
	v_pk_fma_f32 v[254:255], v[126:127], v[44:45], v[254:255]  // 000000006930: D3B040FE 1FFA597E
	s_add_u32 s60, 0x200, s80                                  // 000000006938: 803C50FF 00000200
	s_cmp_lt_u32 s60, s81                                      // 000000006940: BF0A513C
	s_cselect_b32 s56, s56, 0                                  // 000000006944: 85388038
	s_cselect_b32 s78, s78, 0                                  // 000000006948: 854E804E
	s_cselect_b32 s79, s79, 0                                  // 00000000694C: 854F804F
	s_add_u32 s12, s56, s12                                    // 000000006950: 800C0C38
	s_addc_u32 s13, 0, s13                                     // 000000006954: 820D0D80
	s_add_u32 s16, s79, s16                                    // 000000006958: 8010104F
	s_addc_u32 s17, 0, s17                                     // 00000000695C: 82111180
	v_mov_b32_e32 v44, v24                                     // 000000006960: 7E580318
	v_mov_b32_e32 v45, v24                                     // 000000006964: 7E5A0318
	v_pk_mul_f32 v[224:225], v[44:45], v[224:225]              // 000000006968: D3B140E0 1803C12C
	v_pk_mul_f32 v[226:227], v[44:45], v[226:227]              // 000000006970: D3B140E2 1803C52C
	v_pk_mul_f32 v[232:233], v[44:45], v[232:233]              // 000000006978: D3B140E8 1803D12C
	v_pk_mul_f32 v[234:235], v[44:45], v[234:235]              // 000000006980: D3B140EA 1803D52C
	v_pk_mul_f32 v[240:241], v[44:45], v[240:241]              // 000000006988: D3B140F0 1803E12C
	v_pk_mul_f32 v[242:243], v[44:45], v[242:243]              // 000000006990: D3B140F2 1803E52C
	v_pk_mul_f32 v[248:249], v[44:45], v[248:249]              // 000000006998: D3B140F8 1803F12C
	v_pk_mul_f32 v[250:251], v[44:45], v[250:251]              // 0000000069A0: D3B140FA 1803F52C
	v_mov_b32_e32 v44, v25                                     // 0000000069A8: 7E580319
	v_mov_b32_e32 v45, v25                                     // 0000000069AC: 7E5A0319
	v_pk_mul_f32 v[228:229], v[44:45], v[228:229]              // 0000000069B0: D3B140E4 1803C92C
	v_pk_mul_f32 v[230:231], v[44:45], v[230:231]              // 0000000069B8: D3B140E6 1803CD2C
	v_pk_mul_f32 v[236:237], v[44:45], v[236:237]              // 0000000069C0: D3B140EC 1803D92C
	v_pk_mul_f32 v[238:239], v[44:45], v[238:239]              // 0000000069C8: D3B140EE 1803DD2C
	v_pk_mul_f32 v[244:245], v[44:45], v[244:245]              // 0000000069D0: D3B140F4 1803E92C
	v_pk_mul_f32 v[246:247], v[44:45], v[246:247]              // 0000000069D8: D3B140F6 1803ED2C
	v_pk_mul_f32 v[252:253], v[44:45], v[252:253]              // 0000000069E0: D3B140FC 1803F92C
	v_pk_mul_f32 v[254:255], v[44:45], v[254:255]              // 0000000069E8: D3B140FE 1803FD2C
	v_cvt_pk_bf16_f32 v224, v224, v225                         // 0000000069F0: D26800E0 0003C3E0
	v_cvt_pk_bf16_f32 v225, v226, v227                         // 0000000069F8: D26800E1 0003C7E2
	v_cvt_pk_bf16_f32 v226, v228, v229                         // 000000006A00: D26800E2 0003CBE4
	v_cvt_pk_bf16_f32 v227, v230, v231                         // 000000006A08: D26800E3 0003CFE6
	v_cvt_pk_bf16_f32 v228, v232, v233                         // 000000006A10: D26800E4 0003D3E8
	v_cvt_pk_bf16_f32 v229, v234, v235                         // 000000006A18: D26800E5 0003D7EA
	v_cvt_pk_bf16_f32 v230, v236, v237                         // 000000006A20: D26800E6 0003DBEC
	v_cvt_pk_bf16_f32 v231, v238, v239                         // 000000006A28: D26800E7 0003DFEE
	v_cvt_pk_bf16_f32 v232, v240, v241                         // 000000006A30: D26800E8 0003E3F0
	v_cvt_pk_bf16_f32 v233, v242, v243                         // 000000006A38: D26800E9 0003E7F2
	v_cvt_pk_bf16_f32 v234, v244, v245                         // 000000006A40: D26800EA 0003EBF4
	v_cvt_pk_bf16_f32 v235, v246, v247                         // 000000006A48: D26800EB 0003EFF6
	v_cvt_pk_bf16_f32 v236, v248, v249                         // 000000006A50: D26800EC 0003F3F8
	v_cvt_pk_bf16_f32 v237, v250, v251                         // 000000006A58: D26800ED 0003F7FA
	v_cvt_pk_bf16_f32 v238, v252, v253                         // 000000006A60: D26800EE 0003FBFC
	v_cvt_pk_bf16_f32 v239, v254, v255                         // 000000006A68: D26800EF 0003FFFE
	s_cmp_ge_u32 s80, 0x200                                    // 000000006A70: BF09FF50 00000200
	s_cselect_b32 s59, 0x200, s59                              // 000000006A78: 853B3BFF 00000200
	s_setvskip s20, 0                                          // 000000006A80: BF108014
	global_atomic_pk_add_bf16 v64, v48, s[8:9]                 // 000000006A84: DD488000 00083040
	s_setvskip 0, 0                                            // 000000006A8C: BF108080
	s_setvskip s20, 0                                          // 000000006A90: BF108014
	global_atomic_pk_add_bf16 v64, v49, s[8:9] offset:256      // 000000006A94: DD488100 00083140
	s_setvskip 0, 0                                            // 000000006A9C: BF108080
	s_setvskip s20, 1                                          // 000000006AA0: BF108114
	global_atomic_pk_add_bf16 v66, v50, s[8:9]                 // 000000006AA4: DD488000 00083242
	s_setvskip 0, 0                                            // 000000006AAC: BF108080
	s_setvskip s20, 1                                          // 000000006AB0: BF108114
	global_atomic_pk_add_bf16 v66, v51, s[8:9] offset:256      // 000000006AB4: DD488100 00083342
	s_setvskip 0, 0                                            // 000000006ABC: BF108080
	s_setvskip s20, 2                                          // 000000006AC0: BF108214
	global_atomic_pk_add_bf16 v68, v52, s[8:9]                 // 000000006AC4: DD488000 00083444
	s_setvskip 0, 0                                            // 000000006ACC: BF108080
	s_setvskip s20, 2                                          // 000000006AD0: BF108214
	global_atomic_pk_add_bf16 v68, v53, s[8:9] offset:256      // 000000006AD4: DD488100 00083544
	s_setvskip 0, 0                                            // 000000006ADC: BF108080
	s_setvskip s20, 3                                          // 000000006AE0: BF108314
	global_atomic_pk_add_bf16 v70, v54, s[8:9]                 // 000000006AE4: DD488000 00083646
	s_setvskip 0, 0                                            // 000000006AEC: BF108080
	s_setvskip s20, 3                                          // 000000006AF0: BF108314
	global_atomic_pk_add_bf16 v70, v55, s[8:9] offset:256      // 000000006AF4: DD488100 00083746
	s_setvskip 0, 0                                            // 000000006AFC: BF108080
	s_setvskip s20, 4                                          // 000000006B00: BF108414
	global_atomic_pk_add_bf16 v72, v56, s[8:9]                 // 000000006B04: DD488000 00083848
	s_setvskip 0, 0                                            // 000000006B0C: BF108080
	s_setvskip s20, 4                                          // 000000006B10: BF108414
	global_atomic_pk_add_bf16 v72, v57, s[8:9] offset:256      // 000000006B14: DD488100 00083948
	s_setvskip 0, 0                                            // 000000006B1C: BF108080
	s_setvskip s20, 5                                          // 000000006B20: BF108514
	global_atomic_pk_add_bf16 v74, v58, s[8:9]                 // 000000006B24: DD488000 00083A4A
	s_setvskip 0, 0                                            // 000000006B2C: BF108080
	s_setvskip s20, 5                                          // 000000006B30: BF108514
	global_atomic_pk_add_bf16 v74, v59, s[8:9] offset:256      // 000000006B34: DD488100 00083B4A
	s_setvskip 0, 0                                            // 000000006B3C: BF108080
	s_setvskip s20, 6                                          // 000000006B40: BF108614
	global_atomic_pk_add_bf16 v76, v60, s[8:9]                 // 000000006B44: DD488000 00083C4C
	s_setvskip 0, 0                                            // 000000006B4C: BF108080
	s_setvskip s20, 6                                          // 000000006B50: BF108614
	global_atomic_pk_add_bf16 v76, v61, s[8:9] offset:256      // 000000006B54: DD488100 00083D4C
	s_setvskip 0, 0                                            // 000000006B5C: BF108080
	s_setvskip s20, 7                                          // 000000006B60: BF108714
	global_atomic_pk_add_bf16 v78, v62, s[8:9]                 // 000000006B64: DD488000 00083E4E
	s_setvskip 0, 0                                            // 000000006B6C: BF108080
	s_setvskip s20, 7                                          // 000000006B70: BF108714
	global_atomic_pk_add_bf16 v78, v63, s[8:9] offset:256      // 000000006B74: DD488100 00083F4E
	s_setvskip 0, 0                                            // 000000006B7C: BF108080
	s_add_u32 s8, s59, s8                                      // 000000006B80: 8008083B
	s_addc_u32 s9, 0, s9                                       // 000000006B84: 82090980
	s_addk_i32 s80, 0x100                                      // 000000006B88: B7500100
	s_cmp_lt_i32 s80, s81                                      // 000000006B8C: BF045150
	s_cbranch_scc0 label_0F66                                  // 000000006B90: BF840001
	s_branch label_0BEF                                        // 000000006B94: BF82FC89

0000000000006b98 <label_0F66>:
	s_nop 0                                                    // 000000006B98: BF800000
	s_nop 0                                                    // 000000006B9C: BF800000
	s_branch label_1BC1                                        // 000000006BA0: BF820C58

0000000000006ba4 <label_0F69>:
	s_waitcnt vmcnt(20) lgkmcnt(0)                             // 000000006BA4: BF8C4074
	s_barrier                                                  // 000000006BA8: BF8A0000
	v_mfma_f32_16x16x128_f8f6f4 v[96:99], a[0:7], v[192:199], 0// 000000006BAC: D3AD0060 0A038100
	buffer_load_dwordx4 a[96:99], v34, s[92:95], 0 offen       // 000000006BB4: E05C1000 80976022
	buffer_load_dwordx4 a[100:103], v34, s[92:95], 0 offen offset:1024// 000000006BBC: E05C1400 80976422
	buffer_load_dwordx4 v26, s[20:23], 0 offen lds             // 000000006BC4: E05D1000 8005001A
	s_add_u32 m0, 0x1080, s51                                  // 000000006BCC: 807C33FF 00001080
	buffer_load_dwordx4 v27, s[20:23], 0 offen lds             // 000000006BD4: E05D1000 8005001B
	s_add_u32 m0, m0, s76                                      // 000000006BDC: 807C4C7C
	v_mfma_f32_16x16x128_f8f6f4 v[100:103], a[0:7], v[208:215], 0// 000000006BE0: D3AD0064 0A03A100
	v_mfma_f32_16x16x128_f8f6f4 v[104:107], a[8:15], v[192:199], 0// 000000006BE8: D3AD0068 0A038108
	buffer_load_dwordx4 a[104:107], v35, s[92:95], 0 offen     // 000000006BF0: E05C1000 80976823
	buffer_load_dwordx4 a[108:111], v35, s[92:95], 0 offen offset:1024// 000000006BF8: E05C1400 80976C23
	buffer_load_dword v6, s[28:31], 0 offen lds                // 000000006C00: E0511000 80070006
	s_add_u32 m0, 0, s50                                       // 000000006C08: 807C3280
	buffer_load_dword v23, v12, s[32:35], 0 offen              // 000000006C0C: E0501000 8008170C
	v_mfma_f32_16x16x128_f8f6f4 v[108:111], a[8:15], v[208:215], 0// 000000006C14: D3AD006C 0A03A108
	s_waitcnt vmcnt(24)                                        // 000000006C1C: BF8C4F78
	v_mfma_f32_16x16x128_f8f6f4 v[112:115], a[16:23], v[192:199], 0// 000000006C20: D3AD0070 0A038110
	buffer_load_dwordx4 a[112:115], v36, s[92:95], 0 offen     // 000000006C28: E05C1000 80977024
	buffer_load_dwordx4 a[116:119], v36, s[92:95], 0 offen offset:1024// 000000006C30: E05C1400 80977424
	v_mfma_f32_16x16x128_f8f6f4 v[116:119], a[16:23], v[208:215], 0// 000000006C38: D3AD0074 0A03A110
	v_mfma_f32_16x16x128_f8f6f4 v[120:123], a[24:31], v[192:199], 0// 000000006C40: D3AD0078 0A038118
	buffer_load_dwordx4 a[120:123], v37, s[92:95], 0 offen     // 000000006C48: E05C1000 80977825
	buffer_load_dwordx4 a[124:127], v37, s[92:95], 0 offen offset:1024// 000000006C50: E05C1400 80977C25
	v_mfma_f32_16x16x128_f8f6f4 v[124:127], a[24:31], v[208:215], 0// 000000006C58: D3AD007C 0A03A118
	s_waitcnt vmcnt(24)                                        // 000000006C60: BF8C4F78
	v_mfma_f32_16x16x128_f8f6f4 v[128:131], a[32:39], v[192:199], 0// 000000006C64: D3AD0080 0A038120
	buffer_load_dwordx4 a[128:131], v38, s[92:95], 0 offen     // 000000006C6C: E05C1000 80978026
	buffer_load_dwordx4 a[132:135], v38, s[92:95], 0 offen offset:1024// 000000006C74: E05C1400 80978426
	v_mfma_f32_16x16x128_f8f6f4 v[132:135], a[32:39], v[208:215], 0// 000000006C7C: D3AD0084 0A03A120
	v_mfma_f32_16x16x128_f8f6f4 v[136:139], a[40:47], v[192:199], 0// 000000006C84: D3AD0088 0A038128
	buffer_load_dwordx4 a[136:139], v39, s[92:95], 0 offen     // 000000006C8C: E05C1000 80978827
	buffer_load_dwordx4 a[140:143], v39, s[92:95], 0 offen offset:1024// 000000006C94: E05C1400 80978C27
	v_mfma_f32_16x16x128_f8f6f4 v[140:143], a[40:47], v[208:215], 0// 000000006C9C: D3AD008C 0A03A128
	v_mul_f32_dpp v44, v22, v14 row_newbcast:0 row_mask:0xf bank_mask:0xf// 000000006CA4: 0A581CFA FF015016
	v_mov_b32_e32 v45, v44                                     // 000000006CAC: 7E5A032C
	v_pk_fma_f32 v[144:145], v[96:97], v[44:45], v[144:145]    // 000000006CB0: D3B04090 1E425960
	v_pk_fma_f32 v[146:147], v[98:99], v[44:45], v[146:147]    // 000000006CB8: D3B04092 1E4A5962
	v_pk_fma_f32 v[152:153], v[104:105], v[44:45], v[152:153]  // 000000006CC0: D3B04098 1E625968
	v_pk_fma_f32 v[154:155], v[106:107], v[44:45], v[154:155]  // 000000006CC8: D3B0409A 1E6A596A
	v_mul_f32_dpp v44, v22, v14 row_newbcast:1 row_mask:0xf bank_mask:0xf// 000000006CD0: 0A581CFA FF015116
	v_mov_b32_e32 v45, v44                                     // 000000006CD8: 7E5A032C
	v_pk_fma_f32 v[160:161], v[112:113], v[44:45], v[160:161]  // 000000006CDC: D3B040A0 1E825970
	v_pk_fma_f32 v[162:163], v[114:115], v[44:45], v[162:163]  // 000000006CE4: D3B040A2 1E8A5972
	v_pk_fma_f32 v[168:169], v[120:121], v[44:45], v[168:169]  // 000000006CEC: D3B040A8 1EA25978
	v_pk_fma_f32 v[170:171], v[122:123], v[44:45], v[170:171]  // 000000006CF4: D3B040AA 1EAA597A
	v_mul_f32_dpp v44, v22, v14 row_newbcast:2 row_mask:0xf bank_mask:0xf// 000000006CFC: 0A581CFA FF015216
	v_mov_b32_e32 v45, v44                                     // 000000006D04: 7E5A032C
	v_pk_fma_f32 v[176:177], v[128:129], v[44:45], v[176:177]  // 000000006D08: D3B040B0 1EC25980
	v_pk_fma_f32 v[178:179], v[130:131], v[44:45], v[178:179]  // 000000006D10: D3B040B2 1ECA5982
	v_pk_fma_f32 v[184:185], v[136:137], v[44:45], v[184:185]  // 000000006D18: D3B040B8 1EE25988
	v_pk_fma_f32 v[186:187], v[138:139], v[44:45], v[186:187]  // 000000006D20: D3B040BA 1EEA598A
	v_mul_f32_dpp v44, v22, v15 row_newbcast:0 row_mask:0xf bank_mask:0xf// 000000006D28: 0A581EFA FF015016
	v_mov_b32_e32 v45, v44                                     // 000000006D30: 7E5A032C
	v_pk_fma_f32 v[148:149], v[100:101], v[44:45], v[148:149]  // 000000006D34: D3B04094 1E525964
	v_pk_fma_f32 v[150:151], v[102:103], v[44:45], v[150:151]  // 000000006D3C: D3B04096 1E5A5966
	v_pk_fma_f32 v[156:157], v[108:109], v[44:45], v[156:157]  // 000000006D44: D3B0409C 1E72596C
	v_pk_fma_f32 v[158:159], v[110:111], v[44:45], v[158:159]  // 000000006D4C: D3B0409E 1E7A596E
	v_mul_f32_dpp v44, v22, v15 row_newbcast:1 row_mask:0xf bank_mask:0xf// 000000006D54: 0A581EFA FF015116
	v_mov_b32_e32 v45, v44                                     // 000000006D5C: 7E5A032C
	v_pk_fma_f32 v[164:165], v[116:117], v[44:45], v[164:165]  // 000000006D60: D3B040A4 1E925974
	v_pk_fma_f32 v[166:167], v[118:119], v[44:45], v[166:167]  // 000000006D68: D3B040A6 1E9A5976
	v_pk_fma_f32 v[172:173], v[124:125], v[44:45], v[172:173]  // 000000006D70: D3B040AC 1EB2597C
	v_pk_fma_f32 v[174:175], v[126:127], v[44:45], v[174:175]  // 000000006D78: D3B040AE 1EBA597E
	v_mul_f32_dpp v44, v22, v15 row_newbcast:2 row_mask:0xf bank_mask:0xf// 000000006D80: 0A581EFA FF015216
	v_mov_b32_e32 v45, v44                                     // 000000006D88: 7E5A032C
	v_pk_fma_f32 v[180:181], v[132:133], v[44:45], v[180:181]  // 000000006D8C: D3B040B4 1ED25984
	v_pk_fma_f32 v[182:183], v[134:135], v[44:45], v[182:183]  // 000000006D94: D3B040B6 1EDA5986
	v_pk_fma_f32 v[188:189], v[140:141], v[44:45], v[188:189]  // 000000006D9C: D3B040BC 1EF2598C
	v_pk_fma_f32 v[190:191], v[142:143], v[44:45], v[190:191]  // 000000006DA4: D3B040BE 1EFA598E
	s_waitcnt vmcnt(24)                                        // 000000006DAC: BF8C4F78
	v_mfma_f32_16x16x128_f8f6f4 v[96:99], a[48:55], v[200:207], 0// 000000006DB0: D3AD0060 0A039130
	buffer_load_dwordx4 a[144:147], v34, s[92:95], 0 offen offset:2048// 000000006DB8: E05C1800 80979022
	buffer_load_dwordx4 a[148:151], v34, s[92:95], 0 offen offset:3072// 000000006DC0: E05C1C00 80979422
	v_mfma_f32_16x16x128_f8f6f4 v[100:103], a[48:55], v[216:223], 0// 000000006DC8: D3AD0064 0A03B130
	v_mfma_f32_16x16x128_f8f6f4 v[104:107], a[56:63], v[200:207], 0// 000000006DD0: D3AD0068 0A039138
	buffer_load_dwordx4 a[152:155], v35, s[92:95], 0 offen offset:2048// 000000006DD8: E05C1800 80979823
	buffer_load_dwordx4 a[156:159], v35, s[92:95], 0 offen offset:3072// 000000006DE0: E05C1C00 80979C23
	v_mfma_f32_16x16x128_f8f6f4 v[108:111], a[56:63], v[216:223], 0// 000000006DE8: D3AD006C 0A03B138
	s_waitcnt vmcnt(24)                                        // 000000006DF0: BF8C4F78
	v_mfma_f32_16x16x128_f8f6f4 v[112:115], a[64:71], v[200:207], 0// 000000006DF4: D3AD0070 0A039140
	buffer_load_dwordx4 a[160:163], v36, s[92:95], 0 offen offset:2048// 000000006DFC: E05C1800 8097A024
	buffer_load_dwordx4 a[164:167], v36, s[92:95], 0 offen offset:3072// 000000006E04: E05C1C00 8097A424
	v_mfma_f32_16x16x128_f8f6f4 v[116:119], a[64:71], v[216:223], 0// 000000006E0C: D3AD0074 0A03B140
	v_mfma_f32_16x16x128_f8f6f4 v[120:123], a[72:79], v[200:207], 0// 000000006E14: D3AD0078 0A039148
	buffer_load_dwordx4 a[168:171], v37, s[92:95], 0 offen offset:2048// 000000006E1C: E05C1800 8097A825
	buffer_load_dwordx4 a[172:175], v37, s[92:95], 0 offen offset:3072// 000000006E24: E05C1C00 8097AC25
	v_mfma_f32_16x16x128_f8f6f4 v[124:127], a[72:79], v[216:223], 0// 000000006E2C: D3AD007C 0A03B148
	s_waitcnt vmcnt(24)                                        // 000000006E34: BF8C4F78
	v_mfma_f32_16x16x128_f8f6f4 v[128:131], a[80:87], v[200:207], 0// 000000006E38: D3AD0080 0A039150
	buffer_load_dwordx4 a[176:179], v38, s[92:95], 0 offen offset:2048// 000000006E40: E05C1800 8097B026
	buffer_load_dwordx4 a[180:183], v38, s[92:95], 0 offen offset:3072// 000000006E48: E05C1C00 8097B426
	v_mfma_f32_16x16x128_f8f6f4 v[132:135], a[80:87], v[216:223], 0// 000000006E50: D3AD0084 0A03B150
	v_mfma_f32_16x16x128_f8f6f4 v[136:139], a[88:95], v[200:207], 0// 000000006E58: D3AD0088 0A039158
	buffer_load_dwordx4 a[184:187], v39, s[92:95], 0 offen offset:2048// 000000006E60: E05C1800 8097B827
	buffer_load_dwordx4 a[188:191], v39, s[92:95], 0 offen offset:3072// 000000006E68: E05C1C00 8097BC27
	v_mfma_f32_16x16x128_f8f6f4 v[140:143], a[88:95], v[216:223], 0// 000000006E70: D3AD008C 0A03B158
	v_mul_f32_dpp v44, v22, v16 row_newbcast:4 row_mask:0xf bank_mask:0xf// 000000006E78: 0A5820FA FF015416
	v_mov_b32_e32 v45, v44                                     // 000000006E80: 7E5A032C
	v_pk_fma_f32 v[144:145], v[96:97], v[44:45], v[144:145]    // 000000006E84: D3B04090 1E425960
	v_pk_fma_f32 v[146:147], v[98:99], v[44:45], v[146:147]    // 000000006E8C: D3B04092 1E4A5962
	v_pk_fma_f32 v[152:153], v[104:105], v[44:45], v[152:153]  // 000000006E94: D3B04098 1E625968
	v_pk_fma_f32 v[154:155], v[106:107], v[44:45], v[154:155]  // 000000006E9C: D3B0409A 1E6A596A
	v_mul_f32_dpp v44, v22, v16 row_newbcast:5 row_mask:0xf bank_mask:0xf// 000000006EA4: 0A5820FA FF015516
	v_mov_b32_e32 v45, v44                                     // 000000006EAC: 7E5A032C
	v_pk_fma_f32 v[160:161], v[112:113], v[44:45], v[160:161]  // 000000006EB0: D3B040A0 1E825970
	v_pk_fma_f32 v[162:163], v[114:115], v[44:45], v[162:163]  // 000000006EB8: D3B040A2 1E8A5972
	v_pk_fma_f32 v[168:169], v[120:121], v[44:45], v[168:169]  // 000000006EC0: D3B040A8 1EA25978
	v_pk_fma_f32 v[170:171], v[122:123], v[44:45], v[170:171]  // 000000006EC8: D3B040AA 1EAA597A
	v_mul_f32_dpp v44, v22, v16 row_newbcast:6 row_mask:0xf bank_mask:0xf// 000000006ED0: 0A5820FA FF015616
	v_mov_b32_e32 v45, v44                                     // 000000006ED8: 7E5A032C
	v_pk_fma_f32 v[176:177], v[128:129], v[44:45], v[176:177]  // 000000006EDC: D3B040B0 1EC25980
	v_pk_fma_f32 v[178:179], v[130:131], v[44:45], v[178:179]  // 000000006EE4: D3B040B2 1ECA5982
	v_pk_fma_f32 v[184:185], v[136:137], v[44:45], v[184:185]  // 000000006EEC: D3B040B8 1EE25988
	v_pk_fma_f32 v[186:187], v[138:139], v[44:45], v[186:187]  // 000000006EF4: D3B040BA 1EEA598A
	v_mul_f32_dpp v44, v22, v17 row_newbcast:4 row_mask:0xf bank_mask:0xf// 000000006EFC: 0A5822FA FF015416
	v_mov_b32_e32 v45, v44                                     // 000000006F04: 7E5A032C
	v_pk_fma_f32 v[148:149], v[100:101], v[44:45], v[148:149]  // 000000006F08: D3B04094 1E525964
	v_pk_fma_f32 v[150:151], v[102:103], v[44:45], v[150:151]  // 000000006F10: D3B04096 1E5A5966
	v_pk_fma_f32 v[156:157], v[108:109], v[44:45], v[156:157]  // 000000006F18: D3B0409C 1E72596C
	v_pk_fma_f32 v[158:159], v[110:111], v[44:45], v[158:159]  // 000000006F20: D3B0409E 1E7A596E
	v_mul_f32_dpp v44, v22, v17 row_newbcast:5 row_mask:0xf bank_mask:0xf// 000000006F28: 0A5822FA FF015516
	v_mov_b32_e32 v45, v44                                     // 000000006F30: 7E5A032C
	v_pk_fma_f32 v[164:165], v[116:117], v[44:45], v[164:165]  // 000000006F34: D3B040A4 1E925974
	v_pk_fma_f32 v[166:167], v[118:119], v[44:45], v[166:167]  // 000000006F3C: D3B040A6 1E9A5976
	v_pk_fma_f32 v[172:173], v[124:125], v[44:45], v[172:173]  // 000000006F44: D3B040AC 1EB2597C
	v_pk_fma_f32 v[174:175], v[126:127], v[44:45], v[174:175]  // 000000006F4C: D3B040AE 1EBA597E
	v_mul_f32_dpp v44, v22, v17 row_newbcast:6 row_mask:0xf bank_mask:0xf// 000000006F54: 0A5822FA FF015616
	v_mov_b32_e32 v45, v44                                     // 000000006F5C: 7E5A032C
	v_pk_fma_f32 v[180:181], v[132:133], v[44:45], v[180:181]  // 000000006F60: D3B040B4 1ED25984
	v_pk_fma_f32 v[182:183], v[134:135], v[44:45], v[182:183]  // 000000006F68: D3B040B6 1EDA5986
	v_pk_fma_f32 v[188:189], v[140:141], v[44:45], v[188:189]  // 000000006F70: D3B040BC 1EF2598C
	v_pk_fma_f32 v[190:191], v[142:143], v[44:45], v[190:191]  // 000000006F78: D3B040BE 1EFA598E
	s_add_u32 s60, 0x100, s80                                  // 000000006F80: 803C50FF 00000100
	s_cmp_lt_u32 s60, s81                                      // 000000006F88: BF0A513C
	s_cselect_b32 s4, s4, 0                                    // 000000006F8C: 85048004
	s_add_u32 s32, s4, s32                                     // 000000006F90: 80202004
	s_addc_u32 s33, 0, s33                                     // 000000006F94: 82212180
	s_waitcnt vmcnt(20)                                        // 000000006F98: BF8C4F74
	s_barrier                                                  // 000000006F9C: BF8A0000
	v_mfma_f32_16x16x128_f8f6f4 v[96:99], a[96:103], v[192:199], 0// 000000006FA0: D3AD0060 0A038160
	buffer_load_dwordx4 a[0:3], v34, s[24:27], 0 offen         // 000000006FA8: E05C1000 80860022
	buffer_load_dwordx4 a[4:7], v34, s[24:27], 0 offen offset:1024// 000000006FB0: E05C1400 80860422
	buffer_load_dword v22, v10, s[32:35], 0 offen              // 000000006FB8: E0501000 8008160A
	v_mfma_f32_16x16x128_f8f6f4 v[100:103], a[96:103], v[208:215], 0// 000000006FC0: D3AD0064 0A03A160
	v_mfma_f32_16x16x128_f8f6f4 v[104:107], a[104:111], v[192:199], 0// 000000006FC8: D3AD0068 0A038168
	buffer_load_dwordx4 a[8:11], v35, s[24:27], 0 offen        // 000000006FD0: E05C1000 80860823
	buffer_load_dwordx4 a[12:15], v35, s[24:27], 0 offen offset:1024// 000000006FD8: E05C1400 80860C23
	v_mfma_f32_16x16x128_f8f6f4 v[108:111], a[104:111], v[208:215], 0// 000000006FE0: D3AD006C 0A03A168
	s_waitcnt vmcnt(21)                                        // 000000006FE8: BF8C4F75
	v_mfma_f32_16x16x128_f8f6f4 v[112:115], a[112:119], v[192:199], 0// 000000006FEC: D3AD0070 0A038170
	buffer_load_dwordx4 a[16:19], v36, s[24:27], 0 offen       // 000000006FF4: E05C1000 80861024
	buffer_load_dwordx4 a[20:23], v36, s[24:27], 0 offen offset:1024// 000000006FFC: E05C1400 80861424
	v_mfma_f32_16x16x128_f8f6f4 v[116:119], a[112:119], v[208:215], 0// 000000007004: D3AD0074 0A03A170
	v_mfma_f32_16x16x128_f8f6f4 v[120:123], a[120:127], v[192:199], 0// 00000000700C: D3AD0078 0A038178
	buffer_load_dwordx4 a[24:27], v37, s[24:27], 0 offen       // 000000007014: E05C1000 80861825
	buffer_load_dwordx4 a[28:31], v37, s[24:27], 0 offen offset:1024// 00000000701C: E05C1400 80861C25
	v_mfma_f32_16x16x128_f8f6f4 v[124:127], a[120:127], v[208:215], 0// 000000007024: D3AD007C 0A03A178
	s_waitcnt vmcnt(21)                                        // 00000000702C: BF8C4F75
	v_mfma_f32_16x16x128_f8f6f4 v[128:131], a[128:135], v[192:199], 0// 000000007030: D3AD0080 0A038180
	buffer_load_dwordx4 a[32:35], v38, s[24:27], 0 offen       // 000000007038: E05C1000 80862026
	buffer_load_dwordx4 a[36:39], v38, s[24:27], 0 offen offset:1024// 000000007040: E05C1400 80862426
	v_mfma_f32_16x16x128_f8f6f4 v[132:135], a[128:135], v[208:215], 0// 000000007048: D3AD0084 0A03A180
	v_mfma_f32_16x16x128_f8f6f4 v[136:139], a[136:143], v[192:199], 0// 000000007050: D3AD0088 0A038188
	buffer_load_dwordx4 a[40:43], v39, s[24:27], 0 offen       // 000000007058: E05C1000 80862827
	buffer_load_dwordx4 a[44:47], v39, s[24:27], 0 offen offset:1024// 000000007060: E05C1400 80862C27
	v_mfma_f32_16x16x128_f8f6f4 v[140:143], a[136:143], v[208:215], 0// 000000007068: D3AD008C 0A03A188
	v_mul_f32_dpp v44, v23, v14 row_newbcast:0 row_mask:0xf bank_mask:0xf// 000000007070: 0A581CFA FF015017
	v_mov_b32_e32 v45, v44                                     // 000000007078: 7E5A032C
	v_pk_fma_f32 v[48:49], v[96:97], v[44:45], v[48:49]        // 00000000707C: D3B04030 1CC25960
	v_pk_fma_f32 v[50:51], v[98:99], v[44:45], v[50:51]        // 000000007084: D3B04032 1CCA5962
	v_pk_fma_f32 v[56:57], v[104:105], v[44:45], v[56:57]      // 00000000708C: D3B04038 1CE25968
	v_pk_fma_f32 v[58:59], v[106:107], v[44:45], v[58:59]      // 000000007094: D3B0403A 1CEA596A
	v_mul_f32_dpp v44, v23, v14 row_newbcast:1 row_mask:0xf bank_mask:0xf// 00000000709C: 0A581CFA FF015117
	v_mov_b32_e32 v45, v44                                     // 0000000070A4: 7E5A032C
	v_pk_fma_f32 v[64:65], v[112:113], v[44:45], v[64:65]      // 0000000070A8: D3B04040 1D025970
	v_pk_fma_f32 v[66:67], v[114:115], v[44:45], v[66:67]      // 0000000070B0: D3B04042 1D0A5972
	v_pk_fma_f32 v[72:73], v[120:121], v[44:45], v[72:73]      // 0000000070B8: D3B04048 1D225978
	v_pk_fma_f32 v[74:75], v[122:123], v[44:45], v[74:75]      // 0000000070C0: D3B0404A 1D2A597A
	v_mul_f32_dpp v44, v23, v14 row_newbcast:2 row_mask:0xf bank_mask:0xf// 0000000070C8: 0A581CFA FF015217
	v_mov_b32_e32 v45, v44                                     // 0000000070D0: 7E5A032C
	v_pk_fma_f32 v[80:81], v[128:129], v[44:45], v[80:81]      // 0000000070D4: D3B04050 1D425980
	v_pk_fma_f32 v[82:83], v[130:131], v[44:45], v[82:83]      // 0000000070DC: D3B04052 1D4A5982
	v_pk_fma_f32 v[88:89], v[136:137], v[44:45], v[88:89]      // 0000000070E4: D3B04058 1D625988
	v_pk_fma_f32 v[90:91], v[138:139], v[44:45], v[90:91]      // 0000000070EC: D3B0405A 1D6A598A
	v_mul_f32_dpp v44, v23, v15 row_newbcast:0 row_mask:0xf bank_mask:0xf// 0000000070F4: 0A581EFA FF015017
	v_mov_b32_e32 v45, v44                                     // 0000000070FC: 7E5A032C
	v_pk_fma_f32 v[52:53], v[100:101], v[44:45], v[52:53]      // 000000007100: D3B04034 1CD25964
	v_pk_fma_f32 v[54:55], v[102:103], v[44:45], v[54:55]      // 000000007108: D3B04036 1CDA5966
	v_pk_fma_f32 v[60:61], v[108:109], v[44:45], v[60:61]      // 000000007110: D3B0403C 1CF2596C
	v_pk_fma_f32 v[62:63], v[110:111], v[44:45], v[62:63]      // 000000007118: D3B0403E 1CFA596E
	v_mul_f32_dpp v44, v23, v15 row_newbcast:1 row_mask:0xf bank_mask:0xf// 000000007120: 0A581EFA FF015117
	v_mov_b32_e32 v45, v44                                     // 000000007128: 7E5A032C
	v_pk_fma_f32 v[68:69], v[116:117], v[44:45], v[68:69]      // 00000000712C: D3B04044 1D125974
	v_pk_fma_f32 v[70:71], v[118:119], v[44:45], v[70:71]      // 000000007134: D3B04046 1D1A5976
	v_pk_fma_f32 v[76:77], v[124:125], v[44:45], v[76:77]      // 00000000713C: D3B0404C 1D32597C
	v_pk_fma_f32 v[78:79], v[126:127], v[44:45], v[78:79]      // 000000007144: D3B0404E 1D3A597E
	v_mul_f32_dpp v44, v23, v15 row_newbcast:2 row_mask:0xf bank_mask:0xf// 00000000714C: 0A581EFA FF015217
	v_mov_b32_e32 v45, v44                                     // 000000007154: 7E5A032C
	v_pk_fma_f32 v[84:85], v[132:133], v[44:45], v[84:85]      // 000000007158: D3B04054 1D525984
	v_pk_fma_f32 v[86:87], v[134:135], v[44:45], v[86:87]      // 000000007160: D3B04056 1D5A5986
	v_pk_fma_f32 v[92:93], v[140:141], v[44:45], v[92:93]      // 000000007168: D3B0405C 1D72598C
	v_pk_fma_f32 v[94:95], v[142:143], v[44:45], v[94:95]      // 000000007170: D3B0405E 1D7A598E
	s_waitcnt vmcnt(21)                                        // 000000007178: BF8C4F75
	v_mfma_f32_16x16x128_f8f6f4 v[96:99], a[144:151], v[200:207], 0// 00000000717C: D3AD0060 0A039190
	buffer_load_dwordx4 a[48:51], v34, s[24:27], 0 offen offset:2048// 000000007184: E05C1800 80863022
	buffer_load_dwordx4 a[52:55], v34, s[24:27], 0 offen offset:3072// 00000000718C: E05C1C00 80863422
	v_mfma_f32_16x16x128_f8f6f4 v[100:103], a[144:151], v[216:223], 0// 000000007194: D3AD0064 0A03B190
	ds_read_b128 v[224:227], v1 offset:9472                    // 00000000719C: D9FE2500 E0000001
	ds_read_b128 v[228:231], v1 offset:9536                    // 0000000071A4: D9FE2540 E4000001
	ds_read_b32 v18, v2 offset:17920                           // 0000000071AC: D86C4600 12000002
	v_mfma_f32_16x16x128_f8f6f4 v[104:107], a[152:159], v[200:207], 0// 0000000071B4: D3AD0068 0A039198
	buffer_load_dwordx4 a[56:59], v35, s[24:27], 0 offen offset:2048// 0000000071BC: E05C1800 80863823
	buffer_load_dwordx4 a[60:63], v35, s[24:27], 0 offen offset:3072// 0000000071C4: E05C1C00 80863C23
	v_mfma_f32_16x16x128_f8f6f4 v[108:111], a[152:159], v[216:223], 0// 0000000071CC: D3AD006C 0A03B198
	ds_read_b128 v[232:235], v1 offset:13696                   // 0000000071D4: D9FE3580 E8000001
	ds_read_b128 v[236:239], v1 offset:13760                   // 0000000071DC: D9FE35C0 EC000001
	ds_read_b32 v19, v2 offset:18176                           // 0000000071E4: D86C4700 13000002
	s_waitcnt vmcnt(21)                                        // 0000000071EC: BF8C4F75
	v_mfma_f32_16x16x128_f8f6f4 v[112:115], a[160:167], v[200:207], 0// 0000000071F0: D3AD0070 0A0391A0
	buffer_load_dwordx4 a[64:67], v36, s[24:27], 0 offen offset:2048// 0000000071F8: E05C1800 80864024
	buffer_load_dwordx4 a[68:71], v36, s[24:27], 0 offen offset:3072// 000000007200: E05C1C00 80864424
	v_mfma_f32_16x16x128_f8f6f4 v[116:119], a[160:167], v[216:223], 0// 000000007208: D3AD0074 0A03B1A0
	ds_read_b128 v[240:243], v1 offset:9984                    // 000000007210: D9FE2700 F0000001
	ds_read_b128 v[244:247], v1 offset:10048                   // 000000007218: D9FE2740 F4000001
	ds_read_b32 v20, v2 offset:18432                           // 000000007220: D86C4800 14000002
	v_mfma_f32_16x16x128_f8f6f4 v[120:123], a[168:175], v[200:207], 0// 000000007228: D3AD0078 0A0391A8
	buffer_load_dwordx4 a[72:75], v37, s[24:27], 0 offen offset:2048// 000000007230: E05C1800 80864825
	buffer_load_dwordx4 a[76:79], v37, s[24:27], 0 offen offset:3072// 000000007238: E05C1C00 80864C25
	v_mfma_f32_16x16x128_f8f6f4 v[124:127], a[168:175], v[216:223], 0// 000000007240: D3AD007C 0A03B1A8
	ds_read_b128 v[248:251], v1 offset:14208                   // 000000007248: D9FE3780 F8000001
	ds_read_b128 v[252:255], v1 offset:14272                   // 000000007250: D9FE37C0 FC000001
	ds_read_b32 v21, v2 offset:18688                           // 000000007258: D86C4900 15000002
	s_waitcnt vmcnt(21)                                        // 000000007260: BF8C4F75
	v_mfma_f32_16x16x128_f8f6f4 v[128:131], a[176:183], v[200:207], 0// 000000007264: D3AD0080 0A0391B0
	buffer_load_dwordx4 a[80:83], v38, s[24:27], 0 offen offset:2048// 00000000726C: E05C1800 80865026
	buffer_load_dwordx4 a[84:87], v38, s[24:27], 0 offen offset:3072// 000000007274: E05C1C00 80865426
	v_mfma_f32_16x16x128_f8f6f4 v[132:135], a[176:183], v[216:223], 0// 00000000727C: D3AD0084 0A03B1B0
	v_mfma_f32_16x16x128_f8f6f4 v[136:139], a[184:191], v[200:207], 0// 000000007284: D3AD0088 0A0391B8
	buffer_load_dwordx4 a[88:91], v39, s[24:27], 0 offen offset:2048// 00000000728C: E05C1800 80865827
	buffer_load_dwordx4 a[92:95], v39, s[24:27], 0 offen offset:3072// 000000007294: E05C1C00 80865C27
	v_mfma_f32_16x16x128_f8f6f4 v[140:143], a[184:191], v[216:223], 0// 00000000729C: D3AD008C 0A03B1B8
	v_mul_f32_dpp v44, v23, v16 row_newbcast:4 row_mask:0xf bank_mask:0xf// 0000000072A4: 0A5820FA FF015417
	v_mov_b32_e32 v45, v44                                     // 0000000072AC: 7E5A032C
	v_pk_fma_f32 v[48:49], v[96:97], v[44:45], v[48:49]        // 0000000072B0: D3B04030 1CC25960
	v_pk_fma_f32 v[50:51], v[98:99], v[44:45], v[50:51]        // 0000000072B8: D3B04032 1CCA5962
	v_pk_fma_f32 v[56:57], v[104:105], v[44:45], v[56:57]      // 0000000072C0: D3B04038 1CE25968
	v_pk_fma_f32 v[58:59], v[106:107], v[44:45], v[58:59]      // 0000000072C8: D3B0403A 1CEA596A
	v_mul_f32_dpp v44, v23, v16 row_newbcast:5 row_mask:0xf bank_mask:0xf// 0000000072D0: 0A5820FA FF015517
	v_mov_b32_e32 v45, v44                                     // 0000000072D8: 7E5A032C
	v_pk_fma_f32 v[64:65], v[112:113], v[44:45], v[64:65]      // 0000000072DC: D3B04040 1D025970
	v_pk_fma_f32 v[66:67], v[114:115], v[44:45], v[66:67]      // 0000000072E4: D3B04042 1D0A5972
	v_pk_fma_f32 v[72:73], v[120:121], v[44:45], v[72:73]      // 0000000072EC: D3B04048 1D225978
	v_pk_fma_f32 v[74:75], v[122:123], v[44:45], v[74:75]      // 0000000072F4: D3B0404A 1D2A597A
	v_mul_f32_dpp v44, v23, v16 row_newbcast:6 row_mask:0xf bank_mask:0xf// 0000000072FC: 0A5820FA FF015617
	v_mov_b32_e32 v45, v44                                     // 000000007304: 7E5A032C
	v_pk_fma_f32 v[80:81], v[128:129], v[44:45], v[80:81]      // 000000007308: D3B04050 1D425980
	v_pk_fma_f32 v[82:83], v[130:131], v[44:45], v[82:83]      // 000000007310: D3B04052 1D4A5982
	v_pk_fma_f32 v[88:89], v[136:137], v[44:45], v[88:89]      // 000000007318: D3B04058 1D625988
	v_pk_fma_f32 v[90:91], v[138:139], v[44:45], v[90:91]      // 000000007320: D3B0405A 1D6A598A
	v_mul_f32_dpp v44, v23, v17 row_newbcast:4 row_mask:0xf bank_mask:0xf// 000000007328: 0A5822FA FF015417
	v_mov_b32_e32 v45, v44                                     // 000000007330: 7E5A032C
	v_pk_fma_f32 v[52:53], v[100:101], v[44:45], v[52:53]      // 000000007334: D3B04034 1CD25964
	v_pk_fma_f32 v[54:55], v[102:103], v[44:45], v[54:55]      // 00000000733C: D3B04036 1CDA5966
	v_pk_fma_f32 v[60:61], v[108:109], v[44:45], v[60:61]      // 000000007344: D3B0403C 1CF2596C
	v_pk_fma_f32 v[62:63], v[110:111], v[44:45], v[62:63]      // 00000000734C: D3B0403E 1CFA596E
	v_mul_f32_dpp v44, v23, v17 row_newbcast:5 row_mask:0xf bank_mask:0xf// 000000007354: 0A5822FA FF015517
	v_mov_b32_e32 v45, v44                                     // 00000000735C: 7E5A032C
	v_pk_fma_f32 v[68:69], v[116:117], v[44:45], v[68:69]      // 000000007360: D3B04044 1D125974
	v_pk_fma_f32 v[70:71], v[118:119], v[44:45], v[70:71]      // 000000007368: D3B04046 1D1A5976
	v_pk_fma_f32 v[76:77], v[124:125], v[44:45], v[76:77]      // 000000007370: D3B0404C 1D32597C
	v_pk_fma_f32 v[78:79], v[126:127], v[44:45], v[78:79]      // 000000007378: D3B0404E 1D3A597E
	v_mul_f32_dpp v44, v23, v17 row_newbcast:6 row_mask:0xf bank_mask:0xf// 000000007380: 0A5822FA FF015617
	v_mov_b32_e32 v45, v44                                     // 000000007388: 7E5A032C
	v_pk_fma_f32 v[84:85], v[132:133], v[44:45], v[84:85]      // 00000000738C: D3B04054 1D525984
	v_pk_fma_f32 v[86:87], v[134:135], v[44:45], v[86:87]      // 000000007394: D3B04056 1D5A5986
	v_pk_fma_f32 v[92:93], v[140:141], v[44:45], v[92:93]      // 00000000739C: D3B0405C 1D72598C
	v_pk_fma_f32 v[94:95], v[142:143], v[44:45], v[94:95]      // 0000000073A4: D3B0405E 1D7A598E
	s_add_u32 s60, 0x200, s80                                  // 0000000073AC: 803C50FF 00000200
	s_cmp_lt_u32 s60, s81                                      // 0000000073B4: BF0A513C
	s_cselect_b32 s57, s57, 0                                  // 0000000073B8: 85398039
	s_cselect_b32 s3, s3, 0                                    // 0000000073BC: 85038003
	s_add_u32 s60, 0x200, s80                                  // 0000000073C0: 803C50FF 00000200
	s_cmp_lt_u32 s60, s81                                      // 0000000073C8: BF0A513C
	s_cselect_b32 s58, s58, 0                                  // 0000000073CC: 853A803A
	s_add_u32 s20, s57, s20                                    // 0000000073D0: 80141439
	s_addc_u32 s21, 0, s21                                     // 0000000073D4: 82151580
	s_add_u32 s28, s3, s28                                     // 0000000073D8: 801C1C03
	s_addc_u32 s29, 0, s29                                     // 0000000073DC: 821D1D80
	s_add_u32 s24, s58, s24                                    // 0000000073E0: 8018183A
	s_addc_u32 s25, 0, s25                                     // 0000000073E4: 82191980
	s_add_u32 s92, s90, s92                                    // 0000000073E8: 805C5C5A
	s_addc_u32 s93, 0, s93                                     // 0000000073EC: 825D5D80
	s_addk_i32 s80, 0x100                                      // 0000000073F0: B7500100
	s_cmp_lt_i32 s80, s81                                      // 0000000073F4: BF045150
	s_cbranch_scc0 label_1396                                  // 0000000073F8: BF840217
	s_waitcnt vmcnt(20) lgkmcnt(0)                             // 0000000073FC: BF8C4074
	s_barrier                                                  // 000000007400: BF8A0000
	v_mfma_f32_16x16x128_f8f6f4 v[96:99], a[0:7], v[224:231], 0// 000000007404: D3AD0060 0A03C100
	buffer_load_dwordx4 a[96:99], v34, s[92:95], 0 offen       // 00000000740C: E05C1000 80976022
	buffer_load_dwordx4 a[100:103], v34, s[92:95], 0 offen offset:1024// 000000007414: E05C1400 80976422
	buffer_load_dwordx4 v26, s[20:23], 0 offen lds             // 00000000741C: E05D1000 8005001A
	s_add_u32 m0, 0x1080, s50                                  // 000000007424: 807C32FF 00001080
	buffer_load_dwordx4 v27, s[20:23], 0 offen lds             // 00000000742C: E05D1000 8005001B
	s_add_u32 m0, m0, s76                                      // 000000007434: 807C4C7C
	v_mfma_f32_16x16x128_f8f6f4 v[100:103], a[0:7], v[240:247], 0// 000000007438: D3AD0064 0A03E100
	v_mfma_f32_16x16x128_f8f6f4 v[104:107], a[8:15], v[224:231], 0// 000000007440: D3AD0068 0A03C108
	buffer_load_dwordx4 a[104:107], v35, s[92:95], 0 offen     // 000000007448: E05C1000 80976823
	buffer_load_dwordx4 a[108:111], v35, s[92:95], 0 offen offset:1024// 000000007450: E05C1400 80976C23
	buffer_load_dword v6, s[28:31], 0 offen lds                // 000000007458: E0511000 80070006
	s_add_u32 m0, 0, s51                                       // 000000007460: 807C3380
	buffer_load_dword v23, v12, s[32:35], 0 offen              // 000000007464: E0501000 8008170C
	v_mfma_f32_16x16x128_f8f6f4 v[108:111], a[8:15], v[240:247], 0// 00000000746C: D3AD006C 0A03E108
	s_waitcnt vmcnt(24)                                        // 000000007474: BF8C4F78
	v_mfma_f32_16x16x128_f8f6f4 v[112:115], a[16:23], v[224:231], 0// 000000007478: D3AD0070 0A03C110
	buffer_load_dwordx4 a[112:115], v36, s[92:95], 0 offen     // 000000007480: E05C1000 80977024
	buffer_load_dwordx4 a[116:119], v36, s[92:95], 0 offen offset:1024// 000000007488: E05C1400 80977424
	v_mfma_f32_16x16x128_f8f6f4 v[116:119], a[16:23], v[240:247], 0// 000000007490: D3AD0074 0A03E110
	v_mfma_f32_16x16x128_f8f6f4 v[120:123], a[24:31], v[224:231], 0// 000000007498: D3AD0078 0A03C118
	buffer_load_dwordx4 a[120:123], v37, s[92:95], 0 offen     // 0000000074A0: E05C1000 80977825
	buffer_load_dwordx4 a[124:127], v37, s[92:95], 0 offen offset:1024// 0000000074A8: E05C1400 80977C25
	v_mfma_f32_16x16x128_f8f6f4 v[124:127], a[24:31], v[240:247], 0// 0000000074B0: D3AD007C 0A03E118
	s_waitcnt vmcnt(24)                                        // 0000000074B8: BF8C4F78
	v_mfma_f32_16x16x128_f8f6f4 v[128:131], a[32:39], v[224:231], 0// 0000000074BC: D3AD0080 0A03C120
	buffer_load_dwordx4 a[128:131], v38, s[92:95], 0 offen     // 0000000074C4: E05C1000 80978026
	buffer_load_dwordx4 a[132:135], v38, s[92:95], 0 offen offset:1024// 0000000074CC: E05C1400 80978426
	v_mfma_f32_16x16x128_f8f6f4 v[132:135], a[32:39], v[240:247], 0// 0000000074D4: D3AD0084 0A03E120
	v_mfma_f32_16x16x128_f8f6f4 v[136:139], a[40:47], v[224:231], 0// 0000000074DC: D3AD0088 0A03C128
	buffer_load_dwordx4 a[136:139], v39, s[92:95], 0 offen     // 0000000074E4: E05C1000 80978827
	buffer_load_dwordx4 a[140:143], v39, s[92:95], 0 offen offset:1024// 0000000074EC: E05C1400 80978C27
	v_mfma_f32_16x16x128_f8f6f4 v[140:143], a[40:47], v[240:247], 0// 0000000074F4: D3AD008C 0A03E128
	v_mul_f32_dpp v44, v22, v18 row_newbcast:0 row_mask:0xf bank_mask:0xf// 0000000074FC: 0A5824FA FF015016
	v_mov_b32_e32 v45, v44                                     // 000000007504: 7E5A032C
	v_pk_fma_f32 v[144:145], v[96:97], v[44:45], v[144:145]    // 000000007508: D3B04090 1E425960
	v_pk_fma_f32 v[146:147], v[98:99], v[44:45], v[146:147]    // 000000007510: D3B04092 1E4A5962
	v_pk_fma_f32 v[152:153], v[104:105], v[44:45], v[152:153]  // 000000007518: D3B04098 1E625968
	v_pk_fma_f32 v[154:155], v[106:107], v[44:45], v[154:155]  // 000000007520: D3B0409A 1E6A596A
	v_mul_f32_dpp v44, v22, v18 row_newbcast:1 row_mask:0xf bank_mask:0xf// 000000007528: 0A5824FA FF015116
	v_mov_b32_e32 v45, v44                                     // 000000007530: 7E5A032C
	v_pk_fma_f32 v[160:161], v[112:113], v[44:45], v[160:161]  // 000000007534: D3B040A0 1E825970
	v_pk_fma_f32 v[162:163], v[114:115], v[44:45], v[162:163]  // 00000000753C: D3B040A2 1E8A5972
	v_pk_fma_f32 v[168:169], v[120:121], v[44:45], v[168:169]  // 000000007544: D3B040A8 1EA25978
	v_pk_fma_f32 v[170:171], v[122:123], v[44:45], v[170:171]  // 00000000754C: D3B040AA 1EAA597A
	v_mul_f32_dpp v44, v22, v18 row_newbcast:2 row_mask:0xf bank_mask:0xf// 000000007554: 0A5824FA FF015216
	v_mov_b32_e32 v45, v44                                     // 00000000755C: 7E5A032C
	v_pk_fma_f32 v[176:177], v[128:129], v[44:45], v[176:177]  // 000000007560: D3B040B0 1EC25980
	v_pk_fma_f32 v[178:179], v[130:131], v[44:45], v[178:179]  // 000000007568: D3B040B2 1ECA5982
	v_pk_fma_f32 v[184:185], v[136:137], v[44:45], v[184:185]  // 000000007570: D3B040B8 1EE25988
	v_pk_fma_f32 v[186:187], v[138:139], v[44:45], v[186:187]  // 000000007578: D3B040BA 1EEA598A
	v_mul_f32_dpp v44, v22, v19 row_newbcast:0 row_mask:0xf bank_mask:0xf// 000000007580: 0A5826FA FF015016
	v_mov_b32_e32 v45, v44                                     // 000000007588: 7E5A032C
	v_pk_fma_f32 v[148:149], v[100:101], v[44:45], v[148:149]  // 00000000758C: D3B04094 1E525964
	v_pk_fma_f32 v[150:151], v[102:103], v[44:45], v[150:151]  // 000000007594: D3B04096 1E5A5966
	v_pk_fma_f32 v[156:157], v[108:109], v[44:45], v[156:157]  // 00000000759C: D3B0409C 1E72596C
	v_pk_fma_f32 v[158:159], v[110:111], v[44:45], v[158:159]  // 0000000075A4: D3B0409E 1E7A596E
	v_mul_f32_dpp v44, v22, v19 row_newbcast:1 row_mask:0xf bank_mask:0xf// 0000000075AC: 0A5826FA FF015116
	v_mov_b32_e32 v45, v44                                     // 0000000075B4: 7E5A032C
	v_pk_fma_f32 v[164:165], v[116:117], v[44:45], v[164:165]  // 0000000075B8: D3B040A4 1E925974
	v_pk_fma_f32 v[166:167], v[118:119], v[44:45], v[166:167]  // 0000000075C0: D3B040A6 1E9A5976
	v_pk_fma_f32 v[172:173], v[124:125], v[44:45], v[172:173]  // 0000000075C8: D3B040AC 1EB2597C
	v_pk_fma_f32 v[174:175], v[126:127], v[44:45], v[174:175]  // 0000000075D0: D3B040AE 1EBA597E
	v_mul_f32_dpp v44, v22, v19 row_newbcast:2 row_mask:0xf bank_mask:0xf// 0000000075D8: 0A5826FA FF015216
	v_mov_b32_e32 v45, v44                                     // 0000000075E0: 7E5A032C
	v_pk_fma_f32 v[180:181], v[132:133], v[44:45], v[180:181]  // 0000000075E4: D3B040B4 1ED25984
	v_pk_fma_f32 v[182:183], v[134:135], v[44:45], v[182:183]  // 0000000075EC: D3B040B6 1EDA5986
	v_pk_fma_f32 v[188:189], v[140:141], v[44:45], v[188:189]  // 0000000075F4: D3B040BC 1EF2598C
	v_pk_fma_f32 v[190:191], v[142:143], v[44:45], v[190:191]  // 0000000075FC: D3B040BE 1EFA598E
	s_waitcnt vmcnt(24)                                        // 000000007604: BF8C4F78
	v_mfma_f32_16x16x128_f8f6f4 v[96:99], a[48:55], v[232:239], 0// 000000007608: D3AD0060 0A03D130
	buffer_load_dwordx4 a[144:147], v34, s[92:95], 0 offen offset:2048// 000000007610: E05C1800 80979022
	buffer_load_dwordx4 a[148:151], v34, s[92:95], 0 offen offset:3072// 000000007618: E05C1C00 80979422
	v_mfma_f32_16x16x128_f8f6f4 v[100:103], a[48:55], v[248:255], 0// 000000007620: D3AD0064 0A03F130
	v_mfma_f32_16x16x128_f8f6f4 v[104:107], a[56:63], v[232:239], 0// 000000007628: D3AD0068 0A03D138
	buffer_load_dwordx4 a[152:155], v35, s[92:95], 0 offen offset:2048// 000000007630: E05C1800 80979823
	buffer_load_dwordx4 a[156:159], v35, s[92:95], 0 offen offset:3072// 000000007638: E05C1C00 80979C23
	v_mfma_f32_16x16x128_f8f6f4 v[108:111], a[56:63], v[248:255], 0// 000000007640: D3AD006C 0A03F138
	s_waitcnt vmcnt(24)                                        // 000000007648: BF8C4F78
	v_mfma_f32_16x16x128_f8f6f4 v[112:115], a[64:71], v[232:239], 0// 00000000764C: D3AD0070 0A03D140
	buffer_load_dwordx4 a[160:163], v36, s[92:95], 0 offen offset:2048// 000000007654: E05C1800 8097A024
	buffer_load_dwordx4 a[164:167], v36, s[92:95], 0 offen offset:3072// 00000000765C: E05C1C00 8097A424
	v_mfma_f32_16x16x128_f8f6f4 v[116:119], a[64:71], v[248:255], 0// 000000007664: D3AD0074 0A03F140
	v_mfma_f32_16x16x128_f8f6f4 v[120:123], a[72:79], v[232:239], 0// 00000000766C: D3AD0078 0A03D148
	buffer_load_dwordx4 a[168:171], v37, s[92:95], 0 offen offset:2048// 000000007674: E05C1800 8097A825
	buffer_load_dwordx4 a[172:175], v37, s[92:95], 0 offen offset:3072// 00000000767C: E05C1C00 8097AC25
	v_mfma_f32_16x16x128_f8f6f4 v[124:127], a[72:79], v[248:255], 0// 000000007684: D3AD007C 0A03F148
	s_waitcnt vmcnt(24)                                        // 00000000768C: BF8C4F78
	v_mfma_f32_16x16x128_f8f6f4 v[128:131], a[80:87], v[232:239], 0// 000000007690: D3AD0080 0A03D150
	buffer_load_dwordx4 a[176:179], v38, s[92:95], 0 offen offset:2048// 000000007698: E05C1800 8097B026
	buffer_load_dwordx4 a[180:183], v38, s[92:95], 0 offen offset:3072// 0000000076A0: E05C1C00 8097B426
	v_mfma_f32_16x16x128_f8f6f4 v[132:135], a[80:87], v[248:255], 0// 0000000076A8: D3AD0084 0A03F150
	v_mfma_f32_16x16x128_f8f6f4 v[136:139], a[88:95], v[232:239], 0// 0000000076B0: D3AD0088 0A03D158
	buffer_load_dwordx4 a[184:187], v39, s[92:95], 0 offen offset:2048// 0000000076B8: E05C1800 8097B827
	buffer_load_dwordx4 a[188:191], v39, s[92:95], 0 offen offset:3072// 0000000076C0: E05C1C00 8097BC27
	v_mfma_f32_16x16x128_f8f6f4 v[140:143], a[88:95], v[248:255], 0// 0000000076C8: D3AD008C 0A03F158
	v_mul_f32_dpp v44, v22, v20 row_newbcast:4 row_mask:0xf bank_mask:0xf// 0000000076D0: 0A5828FA FF015416
	v_mov_b32_e32 v45, v44                                     // 0000000076D8: 7E5A032C
	v_pk_fma_f32 v[144:145], v[96:97], v[44:45], v[144:145]    // 0000000076DC: D3B04090 1E425960
	v_pk_fma_f32 v[146:147], v[98:99], v[44:45], v[146:147]    // 0000000076E4: D3B04092 1E4A5962
	v_pk_fma_f32 v[152:153], v[104:105], v[44:45], v[152:153]  // 0000000076EC: D3B04098 1E625968
	v_pk_fma_f32 v[154:155], v[106:107], v[44:45], v[154:155]  // 0000000076F4: D3B0409A 1E6A596A
	v_mul_f32_dpp v44, v22, v20 row_newbcast:5 row_mask:0xf bank_mask:0xf// 0000000076FC: 0A5828FA FF015516
	v_mov_b32_e32 v45, v44                                     // 000000007704: 7E5A032C
	v_pk_fma_f32 v[160:161], v[112:113], v[44:45], v[160:161]  // 000000007708: D3B040A0 1E825970
	v_pk_fma_f32 v[162:163], v[114:115], v[44:45], v[162:163]  // 000000007710: D3B040A2 1E8A5972
	v_pk_fma_f32 v[168:169], v[120:121], v[44:45], v[168:169]  // 000000007718: D3B040A8 1EA25978
	v_pk_fma_f32 v[170:171], v[122:123], v[44:45], v[170:171]  // 000000007720: D3B040AA 1EAA597A
	v_mul_f32_dpp v44, v22, v20 row_newbcast:6 row_mask:0xf bank_mask:0xf// 000000007728: 0A5828FA FF015616
	v_mov_b32_e32 v45, v44                                     // 000000007730: 7E5A032C
	v_pk_fma_f32 v[176:177], v[128:129], v[44:45], v[176:177]  // 000000007734: D3B040B0 1EC25980
	v_pk_fma_f32 v[178:179], v[130:131], v[44:45], v[178:179]  // 00000000773C: D3B040B2 1ECA5982
	v_pk_fma_f32 v[184:185], v[136:137], v[44:45], v[184:185]  // 000000007744: D3B040B8 1EE25988
	v_pk_fma_f32 v[186:187], v[138:139], v[44:45], v[186:187]  // 00000000774C: D3B040BA 1EEA598A
	v_mul_f32_dpp v44, v22, v21 row_newbcast:4 row_mask:0xf bank_mask:0xf// 000000007754: 0A582AFA FF015416
	v_mov_b32_e32 v45, v44                                     // 00000000775C: 7E5A032C
	v_pk_fma_f32 v[148:149], v[100:101], v[44:45], v[148:149]  // 000000007760: D3B04094 1E525964
	v_pk_fma_f32 v[150:151], v[102:103], v[44:45], v[150:151]  // 000000007768: D3B04096 1E5A5966
	v_pk_fma_f32 v[156:157], v[108:109], v[44:45], v[156:157]  // 000000007770: D3B0409C 1E72596C
	v_pk_fma_f32 v[158:159], v[110:111], v[44:45], v[158:159]  // 000000007778: D3B0409E 1E7A596E
	v_mul_f32_dpp v44, v22, v21 row_newbcast:5 row_mask:0xf bank_mask:0xf// 000000007780: 0A582AFA FF015516
	v_mov_b32_e32 v45, v44                                     // 000000007788: 7E5A032C
	v_pk_fma_f32 v[164:165], v[116:117], v[44:45], v[164:165]  // 00000000778C: D3B040A4 1E925974
	v_pk_fma_f32 v[166:167], v[118:119], v[44:45], v[166:167]  // 000000007794: D3B040A6 1E9A5976
	v_pk_fma_f32 v[172:173], v[124:125], v[44:45], v[172:173]  // 00000000779C: D3B040AC 1EB2597C
	v_pk_fma_f32 v[174:175], v[126:127], v[44:45], v[174:175]  // 0000000077A4: D3B040AE 1EBA597E
	v_mul_f32_dpp v44, v22, v21 row_newbcast:6 row_mask:0xf bank_mask:0xf// 0000000077AC: 0A582AFA FF015616
	v_mov_b32_e32 v45, v44                                     // 0000000077B4: 7E5A032C
	v_pk_fma_f32 v[180:181], v[132:133], v[44:45], v[180:181]  // 0000000077B8: D3B040B4 1ED25984
	v_pk_fma_f32 v[182:183], v[134:135], v[44:45], v[182:183]  // 0000000077C0: D3B040B6 1EDA5986
	v_pk_fma_f32 v[188:189], v[140:141], v[44:45], v[188:189]  // 0000000077C8: D3B040BC 1EF2598C
	v_pk_fma_f32 v[190:191], v[142:143], v[44:45], v[190:191]  // 0000000077D0: D3B040BE 1EFA598E
	s_add_u32 s60, 0x100, s80                                  // 0000000077D8: 803C50FF 00000100
	s_cmp_lt_u32 s60, s81                                      // 0000000077E0: BF0A513C
	s_cselect_b32 s4, s4, 0                                    // 0000000077E4: 85048004
	s_add_u32 s32, s4, s32                                     // 0000000077E8: 80202004
	s_addc_u32 s33, 0, s33                                     // 0000000077EC: 82212180
	s_waitcnt vmcnt(20)                                        // 0000000077F0: BF8C4F74
	s_barrier                                                  // 0000000077F4: BF8A0000
	v_mfma_f32_16x16x128_f8f6f4 v[96:99], a[96:103], v[224:231], 0// 0000000077F8: D3AD0060 0A03C160
	buffer_load_dwordx4 a[0:3], v34, s[24:27], 0 offen         // 000000007800: E05C1000 80860022
	buffer_load_dwordx4 a[4:7], v34, s[24:27], 0 offen offset:1024// 000000007808: E05C1400 80860422
	buffer_load_dword v22, v10, s[32:35], 0 offen              // 000000007810: E0501000 8008160A
	v_mfma_f32_16x16x128_f8f6f4 v[100:103], a[96:103], v[240:247], 0// 000000007818: D3AD0064 0A03E160
	v_mfma_f32_16x16x128_f8f6f4 v[104:107], a[104:111], v[224:231], 0// 000000007820: D3AD0068 0A03C168
	buffer_load_dwordx4 a[8:11], v35, s[24:27], 0 offen        // 000000007828: E05C1000 80860823
	buffer_load_dwordx4 a[12:15], v35, s[24:27], 0 offen offset:1024// 000000007830: E05C1400 80860C23
	v_mfma_f32_16x16x128_f8f6f4 v[108:111], a[104:111], v[240:247], 0// 000000007838: D3AD006C 0A03E168
	s_waitcnt vmcnt(21)                                        // 000000007840: BF8C4F75
	v_mfma_f32_16x16x128_f8f6f4 v[112:115], a[112:119], v[224:231], 0// 000000007844: D3AD0070 0A03C170
	buffer_load_dwordx4 a[16:19], v36, s[24:27], 0 offen       // 00000000784C: E05C1000 80861024
	buffer_load_dwordx4 a[20:23], v36, s[24:27], 0 offen offset:1024// 000000007854: E05C1400 80861424
	v_mfma_f32_16x16x128_f8f6f4 v[116:119], a[112:119], v[240:247], 0// 00000000785C: D3AD0074 0A03E170
	v_mfma_f32_16x16x128_f8f6f4 v[120:123], a[120:127], v[224:231], 0// 000000007864: D3AD0078 0A03C178
	buffer_load_dwordx4 a[24:27], v37, s[24:27], 0 offen       // 00000000786C: E05C1000 80861825
	buffer_load_dwordx4 a[28:31], v37, s[24:27], 0 offen offset:1024// 000000007874: E05C1400 80861C25
	v_mfma_f32_16x16x128_f8f6f4 v[124:127], a[120:127], v[240:247], 0// 00000000787C: D3AD007C 0A03E178
	s_waitcnt vmcnt(21)                                        // 000000007884: BF8C4F75
	v_mfma_f32_16x16x128_f8f6f4 v[128:131], a[128:135], v[224:231], 0// 000000007888: D3AD0080 0A03C180
	buffer_load_dwordx4 a[32:35], v38, s[24:27], 0 offen       // 000000007890: E05C1000 80862026
	buffer_load_dwordx4 a[36:39], v38, s[24:27], 0 offen offset:1024// 000000007898: E05C1400 80862426
	v_mfma_f32_16x16x128_f8f6f4 v[132:135], a[128:135], v[240:247], 0// 0000000078A0: D3AD0084 0A03E180
	v_mfma_f32_16x16x128_f8f6f4 v[136:139], a[136:143], v[224:231], 0// 0000000078A8: D3AD0088 0A03C188
	buffer_load_dwordx4 a[40:43], v39, s[24:27], 0 offen       // 0000000078B0: E05C1000 80862827
	buffer_load_dwordx4 a[44:47], v39, s[24:27], 0 offen offset:1024// 0000000078B8: E05C1400 80862C27
	v_mfma_f32_16x16x128_f8f6f4 v[140:143], a[136:143], v[240:247], 0// 0000000078C0: D3AD008C 0A03E188
	v_mul_f32_dpp v44, v23, v18 row_newbcast:0 row_mask:0xf bank_mask:0xf// 0000000078C8: 0A5824FA FF015017
	v_mov_b32_e32 v45, v44                                     // 0000000078D0: 7E5A032C
	v_pk_fma_f32 v[48:49], v[96:97], v[44:45], v[48:49]        // 0000000078D4: D3B04030 1CC25960
	v_pk_fma_f32 v[50:51], v[98:99], v[44:45], v[50:51]        // 0000000078DC: D3B04032 1CCA5962
	v_pk_fma_f32 v[56:57], v[104:105], v[44:45], v[56:57]      // 0000000078E4: D3B04038 1CE25968
	v_pk_fma_f32 v[58:59], v[106:107], v[44:45], v[58:59]      // 0000000078EC: D3B0403A 1CEA596A
	v_mul_f32_dpp v44, v23, v18 row_newbcast:1 row_mask:0xf bank_mask:0xf// 0000000078F4: 0A5824FA FF015117
	v_mov_b32_e32 v45, v44                                     // 0000000078FC: 7E5A032C
	v_pk_fma_f32 v[64:65], v[112:113], v[44:45], v[64:65]      // 000000007900: D3B04040 1D025970
	v_pk_fma_f32 v[66:67], v[114:115], v[44:45], v[66:67]      // 000000007908: D3B04042 1D0A5972
	v_pk_fma_f32 v[72:73], v[120:121], v[44:45], v[72:73]      // 000000007910: D3B04048 1D225978
	v_pk_fma_f32 v[74:75], v[122:123], v[44:45], v[74:75]      // 000000007918: D3B0404A 1D2A597A
	v_mul_f32_dpp v44, v23, v18 row_newbcast:2 row_mask:0xf bank_mask:0xf// 000000007920: 0A5824FA FF015217
	v_mov_b32_e32 v45, v44                                     // 000000007928: 7E5A032C
	v_pk_fma_f32 v[80:81], v[128:129], v[44:45], v[80:81]      // 00000000792C: D3B04050 1D425980
	v_pk_fma_f32 v[82:83], v[130:131], v[44:45], v[82:83]      // 000000007934: D3B04052 1D4A5982
	v_pk_fma_f32 v[88:89], v[136:137], v[44:45], v[88:89]      // 00000000793C: D3B04058 1D625988
	v_pk_fma_f32 v[90:91], v[138:139], v[44:45], v[90:91]      // 000000007944: D3B0405A 1D6A598A
	v_mul_f32_dpp v44, v23, v19 row_newbcast:0 row_mask:0xf bank_mask:0xf// 00000000794C: 0A5826FA FF015017
	v_mov_b32_e32 v45, v44                                     // 000000007954: 7E5A032C
	v_pk_fma_f32 v[52:53], v[100:101], v[44:45], v[52:53]      // 000000007958: D3B04034 1CD25964
	v_pk_fma_f32 v[54:55], v[102:103], v[44:45], v[54:55]      // 000000007960: D3B04036 1CDA5966
	v_pk_fma_f32 v[60:61], v[108:109], v[44:45], v[60:61]      // 000000007968: D3B0403C 1CF2596C
	v_pk_fma_f32 v[62:63], v[110:111], v[44:45], v[62:63]      // 000000007970: D3B0403E 1CFA596E
	v_mul_f32_dpp v44, v23, v19 row_newbcast:1 row_mask:0xf bank_mask:0xf// 000000007978: 0A5826FA FF015117
	v_mov_b32_e32 v45, v44                                     // 000000007980: 7E5A032C
	v_pk_fma_f32 v[68:69], v[116:117], v[44:45], v[68:69]      // 000000007984: D3B04044 1D125974
	v_pk_fma_f32 v[70:71], v[118:119], v[44:45], v[70:71]      // 00000000798C: D3B04046 1D1A5976
	v_pk_fma_f32 v[76:77], v[124:125], v[44:45], v[76:77]      // 000000007994: D3B0404C 1D32597C
	v_pk_fma_f32 v[78:79], v[126:127], v[44:45], v[78:79]      // 00000000799C: D3B0404E 1D3A597E
	v_mul_f32_dpp v44, v23, v19 row_newbcast:2 row_mask:0xf bank_mask:0xf// 0000000079A4: 0A5826FA FF015217
	v_mov_b32_e32 v45, v44                                     // 0000000079AC: 7E5A032C
	v_pk_fma_f32 v[84:85], v[132:133], v[44:45], v[84:85]      // 0000000079B0: D3B04054 1D525984
	v_pk_fma_f32 v[86:87], v[134:135], v[44:45], v[86:87]      // 0000000079B8: D3B04056 1D5A5986
	v_pk_fma_f32 v[92:93], v[140:141], v[44:45], v[92:93]      // 0000000079C0: D3B0405C 1D72598C
	v_pk_fma_f32 v[94:95], v[142:143], v[44:45], v[94:95]      // 0000000079C8: D3B0405E 1D7A598E
	s_waitcnt vmcnt(21)                                        // 0000000079D0: BF8C4F75
	v_mfma_f32_16x16x128_f8f6f4 v[96:99], a[144:151], v[232:239], 0// 0000000079D4: D3AD0060 0A03D190
	buffer_load_dwordx4 a[48:51], v34, s[24:27], 0 offen offset:2048// 0000000079DC: E05C1800 80863022
	buffer_load_dwordx4 a[52:55], v34, s[24:27], 0 offen offset:3072// 0000000079E4: E05C1C00 80863422
	v_mfma_f32_16x16x128_f8f6f4 v[100:103], a[144:151], v[248:255], 0// 0000000079EC: D3AD0064 0A03F190
	ds_read_b128 v[192:195], v1                                // 0000000079F4: D9FE0000 C0000001
	ds_read_b128 v[196:199], v1 offset:64                      // 0000000079FC: D9FE0040 C4000001
	ds_read_b32 v14, v2 offset:8448                            // 000000007A04: D86C2100 0E000002
	v_mfma_f32_16x16x128_f8f6f4 v[104:107], a[152:159], v[232:239], 0// 000000007A0C: D3AD0068 0A03D198
	buffer_load_dwordx4 a[56:59], v35, s[24:27], 0 offen offset:2048// 000000007A14: E05C1800 80863823
	buffer_load_dwordx4 a[60:63], v35, s[24:27], 0 offen offset:3072// 000000007A1C: E05C1C00 80863C23
	v_mfma_f32_16x16x128_f8f6f4 v[108:111], a[152:159], v[248:255], 0// 000000007A24: D3AD006C 0A03F198
	ds_read_b128 v[200:203], v1 offset:4224                    // 000000007A2C: D9FE1080 C8000001
	ds_read_b128 v[204:207], v1 offset:4288                    // 000000007A34: D9FE10C0 CC000001
	ds_read_b32 v15, v2 offset:8704                            // 000000007A3C: D86C2200 0F000002
	s_waitcnt vmcnt(21)                                        // 000000007A44: BF8C4F75
	v_mfma_f32_16x16x128_f8f6f4 v[112:115], a[160:167], v[232:239], 0// 000000007A48: D3AD0070 0A03D1A0
	buffer_load_dwordx4 a[64:67], v36, s[24:27], 0 offen offset:2048// 000000007A50: E05C1800 80864024
	buffer_load_dwordx4 a[68:71], v36, s[24:27], 0 offen offset:3072// 000000007A58: E05C1C00 80864424
	v_mfma_f32_16x16x128_f8f6f4 v[116:119], a[160:167], v[248:255], 0// 000000007A60: D3AD0074 0A03F1A0
	ds_read_b128 v[208:211], v1 offset:512                     // 000000007A68: D9FE0200 D0000001
	ds_read_b128 v[212:215], v1 offset:576                     // 000000007A70: D9FE0240 D4000001
	ds_read_b32 v16, v2 offset:8960                            // 000000007A78: D86C2300 10000002
	v_mfma_f32_16x16x128_f8f6f4 v[120:123], a[168:175], v[232:239], 0// 000000007A80: D3AD0078 0A03D1A8
	buffer_load_dwordx4 a[72:75], v37, s[24:27], 0 offen offset:2048// 000000007A88: E05C1800 80864825
	buffer_load_dwordx4 a[76:79], v37, s[24:27], 0 offen offset:3072// 000000007A90: E05C1C00 80864C25
	v_mfma_f32_16x16x128_f8f6f4 v[124:127], a[168:175], v[248:255], 0// 000000007A98: D3AD007C 0A03F1A8
	ds_read_b128 v[216:219], v1 offset:4736                    // 000000007AA0: D9FE1280 D8000001
	ds_read_b128 v[220:223], v1 offset:4800                    // 000000007AA8: D9FE12C0 DC000001
	ds_read_b32 v17, v2 offset:9216                            // 000000007AB0: D86C2400 11000002
	s_waitcnt vmcnt(21)                                        // 000000007AB8: BF8C4F75
	v_mfma_f32_16x16x128_f8f6f4 v[128:131], a[176:183], v[232:239], 0// 000000007ABC: D3AD0080 0A03D1B0
	buffer_load_dwordx4 a[80:83], v38, s[24:27], 0 offen offset:2048// 000000007AC4: E05C1800 80865026
	buffer_load_dwordx4 a[84:87], v38, s[24:27], 0 offen offset:3072// 000000007ACC: E05C1C00 80865426
	v_mfma_f32_16x16x128_f8f6f4 v[132:135], a[176:183], v[248:255], 0// 000000007AD4: D3AD0084 0A03F1B0
	v_mfma_f32_16x16x128_f8f6f4 v[136:139], a[184:191], v[232:239], 0// 000000007ADC: D3AD0088 0A03D1B8
	buffer_load_dwordx4 a[88:91], v39, s[24:27], 0 offen offset:2048// 000000007AE4: E05C1800 80865827
	buffer_load_dwordx4 a[92:95], v39, s[24:27], 0 offen offset:3072// 000000007AEC: E05C1C00 80865C27
	v_mfma_f32_16x16x128_f8f6f4 v[140:143], a[184:191], v[248:255], 0// 000000007AF4: D3AD008C 0A03F1B8
	v_mul_f32_dpp v44, v23, v20 row_newbcast:4 row_mask:0xf bank_mask:0xf// 000000007AFC: 0A5828FA FF015417
	v_mov_b32_e32 v45, v44                                     // 000000007B04: 7E5A032C
	v_pk_fma_f32 v[48:49], v[96:97], v[44:45], v[48:49]        // 000000007B08: D3B04030 1CC25960
	v_pk_fma_f32 v[50:51], v[98:99], v[44:45], v[50:51]        // 000000007B10: D3B04032 1CCA5962
	v_pk_fma_f32 v[56:57], v[104:105], v[44:45], v[56:57]      // 000000007B18: D3B04038 1CE25968
	v_pk_fma_f32 v[58:59], v[106:107], v[44:45], v[58:59]      // 000000007B20: D3B0403A 1CEA596A
	v_mul_f32_dpp v44, v23, v20 row_newbcast:5 row_mask:0xf bank_mask:0xf// 000000007B28: 0A5828FA FF015517
	v_mov_b32_e32 v45, v44                                     // 000000007B30: 7E5A032C
	v_pk_fma_f32 v[64:65], v[112:113], v[44:45], v[64:65]      // 000000007B34: D3B04040 1D025970
	v_pk_fma_f32 v[66:67], v[114:115], v[44:45], v[66:67]      // 000000007B3C: D3B04042 1D0A5972
	v_pk_fma_f32 v[72:73], v[120:121], v[44:45], v[72:73]      // 000000007B44: D3B04048 1D225978
	v_pk_fma_f32 v[74:75], v[122:123], v[44:45], v[74:75]      // 000000007B4C: D3B0404A 1D2A597A
	v_mul_f32_dpp v44, v23, v20 row_newbcast:6 row_mask:0xf bank_mask:0xf// 000000007B54: 0A5828FA FF015617
	v_mov_b32_e32 v45, v44                                     // 000000007B5C: 7E5A032C
	v_pk_fma_f32 v[80:81], v[128:129], v[44:45], v[80:81]      // 000000007B60: D3B04050 1D425980
	v_pk_fma_f32 v[82:83], v[130:131], v[44:45], v[82:83]      // 000000007B68: D3B04052 1D4A5982
	v_pk_fma_f32 v[88:89], v[136:137], v[44:45], v[88:89]      // 000000007B70: D3B04058 1D625988
	v_pk_fma_f32 v[90:91], v[138:139], v[44:45], v[90:91]      // 000000007B78: D3B0405A 1D6A598A
	v_mul_f32_dpp v44, v23, v21 row_newbcast:4 row_mask:0xf bank_mask:0xf// 000000007B80: 0A582AFA FF015417
	v_mov_b32_e32 v45, v44                                     // 000000007B88: 7E5A032C
	v_pk_fma_f32 v[52:53], v[100:101], v[44:45], v[52:53]      // 000000007B8C: D3B04034 1CD25964
	v_pk_fma_f32 v[54:55], v[102:103], v[44:45], v[54:55]      // 000000007B94: D3B04036 1CDA5966
	v_pk_fma_f32 v[60:61], v[108:109], v[44:45], v[60:61]      // 000000007B9C: D3B0403C 1CF2596C
	v_pk_fma_f32 v[62:63], v[110:111], v[44:45], v[62:63]      // 000000007BA4: D3B0403E 1CFA596E
	v_mul_f32_dpp v44, v23, v21 row_newbcast:5 row_mask:0xf bank_mask:0xf// 000000007BAC: 0A582AFA FF015517
	v_mov_b32_e32 v45, v44                                     // 000000007BB4: 7E5A032C
	v_pk_fma_f32 v[68:69], v[116:117], v[44:45], v[68:69]      // 000000007BB8: D3B04044 1D125974
	v_pk_fma_f32 v[70:71], v[118:119], v[44:45], v[70:71]      // 000000007BC0: D3B04046 1D1A5976
	v_pk_fma_f32 v[76:77], v[124:125], v[44:45], v[76:77]      // 000000007BC8: D3B0404C 1D32597C
	v_pk_fma_f32 v[78:79], v[126:127], v[44:45], v[78:79]      // 000000007BD0: D3B0404E 1D3A597E
	v_mul_f32_dpp v44, v23, v21 row_newbcast:6 row_mask:0xf bank_mask:0xf// 000000007BD8: 0A582AFA FF015617
	v_mov_b32_e32 v45, v44                                     // 000000007BE0: 7E5A032C
	v_pk_fma_f32 v[84:85], v[132:133], v[44:45], v[84:85]      // 000000007BE4: D3B04054 1D525984
	v_pk_fma_f32 v[86:87], v[134:135], v[44:45], v[86:87]      // 000000007BEC: D3B04056 1D5A5986
	v_pk_fma_f32 v[92:93], v[140:141], v[44:45], v[92:93]      // 000000007BF4: D3B0405C 1D72598C
	v_pk_fma_f32 v[94:95], v[142:143], v[44:45], v[94:95]      // 000000007BFC: D3B0405E 1D7A598E
	s_add_u32 s60, 0x200, s80                                  // 000000007C04: 803C50FF 00000200
	s_cmp_lt_u32 s60, s81                                      // 000000007C0C: BF0A513C
	s_cselect_b32 s57, s57, 0                                  // 000000007C10: 85398039
	s_cselect_b32 s3, s3, 0                                    // 000000007C14: 85038003
	s_add_u32 s60, 0x200, s80                                  // 000000007C18: 803C50FF 00000200
	s_cmp_lt_u32 s60, s81                                      // 000000007C20: BF0A513C
	s_cselect_b32 s58, s58, 0                                  // 000000007C24: 853A803A
	s_add_u32 s20, s57, s20                                    // 000000007C28: 80141439
	s_addc_u32 s21, 0, s21                                     // 000000007C2C: 82151580
	s_add_u32 s28, s3, s28                                     // 000000007C30: 801C1C03
	s_addc_u32 s29, 0, s29                                     // 000000007C34: 821D1D80
	s_add_u32 s24, s58, s24                                    // 000000007C38: 8018183A
	s_addc_u32 s25, 0, s25                                     // 000000007C3C: 82191980
	s_add_u32 s92, s90, s92                                    // 000000007C40: 805C5C5A
	s_addc_u32 s93, 0, s93                                     // 000000007C44: 825D5D80
	s_addk_i32 s80, 0x100                                      // 000000007C48: B7500100
	s_cmp_lt_i32 s80, s81                                      // 000000007C4C: BF045150
	s_cbranch_scc0 label_1396                                  // 000000007C50: BF840001
	s_branch label_0F69                                        // 000000007C54: BF82FBD3

0000000000007c58 <label_1396>:
	s_mov_b32 s20, 0                                           // 000000007C58: BE940080
	s_cmp_lt_u32 s89, s66                                      // 000000007C5C: BF0A4259
	s_cselect_b32 s60, 0, 1                                    // 000000007C60: 853C8180
	s_lshl1_add_u32 s20, s20, s60                              // 000000007C64: 97143C14
	s_cmp_lt_u32 s88, s66                                      // 000000007C68: BF0A4258
	s_cselect_b32 s60, 0, 1                                    // 000000007C6C: 853C8180
	s_lshl1_add_u32 s20, s20, s60                              // 000000007C70: 97143C14
	s_cmp_lt_u32 s87, s66                                      // 000000007C74: BF0A4257
	s_cselect_b32 s60, 0, 1                                    // 000000007C78: 853C8180
	s_lshl1_add_u32 s20, s20, s60                              // 000000007C7C: 97143C14
	s_cmp_lt_u32 s86, s66                                      // 000000007C80: BF0A4256
	s_cselect_b32 s60, 0, 1                                    // 000000007C84: 853C8180
	s_lshl1_add_u32 s20, s20, s60                              // 000000007C88: 97143C14
	s_cmp_lt_u32 s85, s66                                      // 000000007C8C: BF0A4255
	s_cselect_b32 s60, 0, 1                                    // 000000007C90: 853C8180
	s_lshl1_add_u32 s20, s20, s60                              // 000000007C94: 97143C14
	s_cmp_lt_u32 s84, s66                                      // 000000007C98: BF0A4254
	s_cselect_b32 s60, 0, 1                                    // 000000007C9C: 853C8180
	s_lshl1_add_u32 s20, s20, s60                              // 000000007CA0: 97143C14
	s_cmp_lt_u32 s83, s66                                      // 000000007CA4: BF0A4253
	s_cselect_b32 s60, 0, 1                                    // 000000007CA8: 853C8180
	s_lshl1_add_u32 s20, s20, s60                              // 000000007CAC: 97143C14
	s_cmp_lt_u32 s82, s66                                      // 000000007CB0: BF0A4252
	s_cselect_b32 s60, 0, 1                                    // 000000007CB4: 853C8180
	s_lshl1_add_u32 s20, s20, s60                              // 000000007CB8: 97143C14
	v_mov_b32_e32 v96, 0xbfcc4231                              // 000000007CBC: 7EC002FF BFCC4231
	s_waitcnt vmcnt(20)                                        // 000000007CC4: BF8C4F74
	buffer_load_dwordx4 a[0:3], v40, s[12:15], 0 offen         // 000000007CC8: E05C1000 80830028
	v_mul_f32_e32 v44, v144, v144                              // 000000007CD0: 0A592190
	v_mul_f32_e32 v45, v145, v145                              // 000000007CD4: 0A5B2391
	v_mul_f32_e32 v46, v146, v146                              // 000000007CD8: 0A5D2592
	v_mul_f32_e32 v47, v147, v147                              // 000000007CDC: 0A5F2793
	v_fma_f32 v44, v44, s77, v96                               // 000000007CE0: D1CB002C 05809B2C
	v_fma_f32 v45, v45, s77, v96                               // 000000007CE8: D1CB002D 05809B2D
	v_fma_f32 v46, v46, s77, v96                               // 000000007CF0: D1CB002E 05809B2E
	v_fma_f32 v47, v47, s77, v96                               // 000000007CF8: D1CB002F 05809B2F
	v_mul_f32_e32 v44, v44, v144                               // 000000007D00: 0A59212C
	v_mul_f32_e32 v45, v45, v145                               // 000000007D04: 0A5B232D
	v_mul_f32_e32 v46, v46, v146                               // 000000007D08: 0A5D252E
	v_mul_f32_e32 v47, v47, v147                               // 000000007D0C: 0A5F272F
	v_mul_f32_e64 v44, v44, s6                                 // 000000007D10: D105002C 00000D2C
	v_mul_f32_e64 v45, v45, s6                                 // 000000007D18: D105002D 00000D2D
	v_mul_f32_e64 v46, v46, s6                                 // 000000007D20: D105002E 00000D2E
	v_mul_f32_e64 v47, v47, s6                                 // 000000007D28: D105002F 00000D2F
	v_exp_f32_e32 v44, v44                                     // 000000007D30: 7E58412C
	v_exp_f32_e32 v45, v45                                     // 000000007D34: 7E5A412D
	v_exp_f32_e32 v46, v46                                     // 000000007D38: 7E5C412E
	v_exp_f32_e32 v47, v47                                     // 000000007D3C: 7E5E412F
	buffer_load_dwordx4 a[4:7], v40, s[12:15], 0 offen offset:1024// 000000007D40: E05C1400 80830428
	v_add_f32_e64 v44, v44, 1.0                                // 000000007D48: D101002C 0001E52C
	v_add_f32_e64 v45, v45, 1.0                                // 000000007D50: D101002D 0001E52D
	v_add_f32_e64 v46, v46, 1.0                                // 000000007D58: D101002E 0001E52E
	v_add_f32_e64 v47, v47, 1.0                                // 000000007D60: D101002F 0001E52F
	v_rcp_f32_e32 v44, v44                                     // 000000007D68: 7E58452C
	v_rcp_f32_e32 v45, v45                                     // 000000007D6C: 7E5A452D
	v_rcp_f32_e32 v46, v46                                     // 000000007D70: 7E5C452E
	v_rcp_f32_e32 v47, v47                                     // 000000007D74: 7E5E452F
	v_mul_f32_e32 v144, v144, v44                              // 000000007D78: 0B205990
	v_mul_f32_e32 v145, v145, v45                              // 000000007D7C: 0B225B91
	v_mul_f32_e32 v146, v146, v46                              // 000000007D80: 0B245D92
	v_mul_f32_e32 v147, v147, v47                              // 000000007D84: 0B265F93
	v_mul_f32_e32 v144, v144, v48                              // 000000007D88: 0B206190
	v_mul_f32_e32 v145, v145, v49                              // 000000007D8C: 0B226391
	v_mul_f32_e32 v146, v146, v50                              // 000000007D90: 0B246592
	v_mul_f32_e32 v147, v147, v51                              // 000000007D94: 0B266793
	buffer_load_dwordx4 a[8:11], v41, s[12:15], 0 offen        // 000000007D98: E05C1000 80830829
	v_mul_f32_e32 v44, v148, v148                              // 000000007DA0: 0A592994
	v_mul_f32_e32 v45, v149, v149                              // 000000007DA4: 0A5B2B95
	v_mul_f32_e32 v46, v150, v150                              // 000000007DA8: 0A5D2D96
	v_mul_f32_e32 v47, v151, v151                              // 000000007DAC: 0A5F2F97
	v_fma_f32 v44, v44, s77, v96                               // 000000007DB0: D1CB002C 05809B2C
	v_fma_f32 v45, v45, s77, v96                               // 000000007DB8: D1CB002D 05809B2D
	v_fma_f32 v46, v46, s77, v96                               // 000000007DC0: D1CB002E 05809B2E
	v_fma_f32 v47, v47, s77, v96                               // 000000007DC8: D1CB002F 05809B2F
	v_mul_f32_e32 v44, v44, v148                               // 000000007DD0: 0A59292C
	v_mul_f32_e32 v45, v45, v149                               // 000000007DD4: 0A5B2B2D
	v_mul_f32_e32 v46, v46, v150                               // 000000007DD8: 0A5D2D2E
	v_mul_f32_e32 v47, v47, v151                               // 000000007DDC: 0A5F2F2F
	v_mul_f32_e64 v44, v44, s6                                 // 000000007DE0: D105002C 00000D2C
	v_mul_f32_e64 v45, v45, s6                                 // 000000007DE8: D105002D 00000D2D
	v_mul_f32_e64 v46, v46, s6                                 // 000000007DF0: D105002E 00000D2E
	v_mul_f32_e64 v47, v47, s6                                 // 000000007DF8: D105002F 00000D2F
	v_exp_f32_e32 v44, v44                                     // 000000007E00: 7E58412C
	v_exp_f32_e32 v45, v45                                     // 000000007E04: 7E5A412D
	v_exp_f32_e32 v46, v46                                     // 000000007E08: 7E5C412E
	v_exp_f32_e32 v47, v47                                     // 000000007E0C: 7E5E412F
	buffer_load_dwordx4 a[12:15], v41, s[12:15], 0 offen offset:1024// 000000007E10: E05C1400 80830C29
	v_add_f32_e64 v44, v44, 1.0                                // 000000007E18: D101002C 0001E52C
	v_add_f32_e64 v45, v45, 1.0                                // 000000007E20: D101002D 0001E52D
	v_add_f32_e64 v46, v46, 1.0                                // 000000007E28: D101002E 0001E52E
	v_add_f32_e64 v47, v47, 1.0                                // 000000007E30: D101002F 0001E52F
	v_rcp_f32_e32 v44, v44                                     // 000000007E38: 7E58452C
	v_rcp_f32_e32 v45, v45                                     // 000000007E3C: 7E5A452D
	v_rcp_f32_e32 v46, v46                                     // 000000007E40: 7E5C452E
	v_rcp_f32_e32 v47, v47                                     // 000000007E44: 7E5E452F
	v_mul_f32_e32 v148, v148, v44                              // 000000007E48: 0B285994
	v_mul_f32_e32 v149, v149, v45                              // 000000007E4C: 0B2A5B95
	v_mul_f32_e32 v150, v150, v46                              // 000000007E50: 0B2C5D96
	v_mul_f32_e32 v151, v151, v47                              // 000000007E54: 0B2E5F97
	v_mul_f32_e32 v148, v148, v52                              // 000000007E58: 0B286994
	v_mul_f32_e32 v149, v149, v53                              // 000000007E5C: 0B2A6B95
	v_mul_f32_e32 v150, v150, v54                              // 000000007E60: 0B2C6D96
	v_mul_f32_e32 v151, v151, v55                              // 000000007E64: 0B2E6F97
	s_waitcnt vmcnt(20)                                        // 000000007E68: BF8C4F74
	buffer_load_dwordx4 a[16:19], v42, s[12:15], 0 offen       // 000000007E6C: E05C1000 8083102A
	v_mul_f32_e32 v44, v152, v152                              // 000000007E74: 0A593198
	v_mul_f32_e32 v45, v153, v153                              // 000000007E78: 0A5B3399
	v_mul_f32_e32 v46, v154, v154                              // 000000007E7C: 0A5D359A
	v_mul_f32_e32 v47, v155, v155                              // 000000007E80: 0A5F379B
	v_fma_f32 v44, v44, s77, v96                               // 000000007E84: D1CB002C 05809B2C
	v_fma_f32 v45, v45, s77, v96                               // 000000007E8C: D1CB002D 05809B2D
	v_fma_f32 v46, v46, s77, v96                               // 000000007E94: D1CB002E 05809B2E
	v_fma_f32 v47, v47, s77, v96                               // 000000007E9C: D1CB002F 05809B2F
	v_mul_f32_e32 v44, v44, v152                               // 000000007EA4: 0A59312C
	v_mul_f32_e32 v45, v45, v153                               // 000000007EA8: 0A5B332D
	v_mul_f32_e32 v46, v46, v154                               // 000000007EAC: 0A5D352E
	v_mul_f32_e32 v47, v47, v155                               // 000000007EB0: 0A5F372F
	v_mul_f32_e64 v44, v44, s6                                 // 000000007EB4: D105002C 00000D2C
	v_mul_f32_e64 v45, v45, s6                                 // 000000007EBC: D105002D 00000D2D
	v_mul_f32_e64 v46, v46, s6                                 // 000000007EC4: D105002E 00000D2E
	v_mul_f32_e64 v47, v47, s6                                 // 000000007ECC: D105002F 00000D2F
	v_exp_f32_e32 v44, v44                                     // 000000007ED4: 7E58412C
	v_exp_f32_e32 v45, v45                                     // 000000007ED8: 7E5A412D
	v_exp_f32_e32 v46, v46                                     // 000000007EDC: 7E5C412E
	v_exp_f32_e32 v47, v47                                     // 000000007EE0: 7E5E412F
	buffer_load_dwordx4 a[20:23], v42, s[12:15], 0 offen offset:1024// 000000007EE4: E05C1400 8083142A
	v_add_f32_e64 v44, v44, 1.0                                // 000000007EEC: D101002C 0001E52C
	v_add_f32_e64 v45, v45, 1.0                                // 000000007EF4: D101002D 0001E52D
	v_add_f32_e64 v46, v46, 1.0                                // 000000007EFC: D101002E 0001E52E
	v_add_f32_e64 v47, v47, 1.0                                // 000000007F04: D101002F 0001E52F
	v_rcp_f32_e32 v44, v44                                     // 000000007F0C: 7E58452C
	v_rcp_f32_e32 v45, v45                                     // 000000007F10: 7E5A452D
	v_rcp_f32_e32 v46, v46                                     // 000000007F14: 7E5C452E
	v_rcp_f32_e32 v47, v47                                     // 000000007F18: 7E5E452F
	v_mul_f32_e32 v152, v152, v44                              // 000000007F1C: 0B305998
	v_mul_f32_e32 v153, v153, v45                              // 000000007F20: 0B325B99
	v_mul_f32_e32 v154, v154, v46                              // 000000007F24: 0B345D9A
	v_mul_f32_e32 v155, v155, v47                              // 000000007F28: 0B365F9B
	v_mul_f32_e32 v152, v152, v56                              // 000000007F2C: 0B307198
	v_mul_f32_e32 v153, v153, v57                              // 000000007F30: 0B327399
	v_mul_f32_e32 v154, v154, v58                              // 000000007F34: 0B34759A
	v_mul_f32_e32 v155, v155, v59                              // 000000007F38: 0B36779B
	buffer_load_dwordx4 a[24:27], v43, s[12:15], 0 offen       // 000000007F3C: E05C1000 8083182B
	v_mul_f32_e32 v44, v156, v156                              // 000000007F44: 0A59399C
	v_mul_f32_e32 v45, v157, v157                              // 000000007F48: 0A5B3B9D
	v_mul_f32_e32 v46, v158, v158                              // 000000007F4C: 0A5D3D9E
	v_mul_f32_e32 v47, v159, v159                              // 000000007F50: 0A5F3F9F
	v_fma_f32 v44, v44, s77, v96                               // 000000007F54: D1CB002C 05809B2C
	v_fma_f32 v45, v45, s77, v96                               // 000000007F5C: D1CB002D 05809B2D
	v_fma_f32 v46, v46, s77, v96                               // 000000007F64: D1CB002E 05809B2E
	v_fma_f32 v47, v47, s77, v96                               // 000000007F6C: D1CB002F 05809B2F
	v_mul_f32_e32 v44, v44, v156                               // 000000007F74: 0A59392C
	v_mul_f32_e32 v45, v45, v157                               // 000000007F78: 0A5B3B2D
	v_mul_f32_e32 v46, v46, v158                               // 000000007F7C: 0A5D3D2E
	v_mul_f32_e32 v47, v47, v159                               // 000000007F80: 0A5F3F2F
	v_mul_f32_e64 v44, v44, s6                                 // 000000007F84: D105002C 00000D2C
	v_mul_f32_e64 v45, v45, s6                                 // 000000007F8C: D105002D 00000D2D
	v_mul_f32_e64 v46, v46, s6                                 // 000000007F94: D105002E 00000D2E
	v_mul_f32_e64 v47, v47, s6                                 // 000000007F9C: D105002F 00000D2F
	v_exp_f32_e32 v44, v44                                     // 000000007FA4: 7E58412C
	v_exp_f32_e32 v45, v45                                     // 000000007FA8: 7E5A412D
	v_exp_f32_e32 v46, v46                                     // 000000007FAC: 7E5C412E
	v_exp_f32_e32 v47, v47                                     // 000000007FB0: 7E5E412F
	buffer_load_dwordx4 a[28:31], v43, s[12:15], 0 offen offset:1024// 000000007FB4: E05C1400 80831C2B
	s_add_u32 s12, s78, s12                                    // 000000007FBC: 800C0C4E
	s_addc_u32 s13, 0, s13                                     // 000000007FC0: 820D0D80
	v_add_f32_e64 v44, v44, 1.0                                // 000000007FC4: D101002C 0001E52C
	v_add_f32_e64 v45, v45, 1.0                                // 000000007FCC: D101002D 0001E52D
	v_add_f32_e64 v46, v46, 1.0                                // 000000007FD4: D101002E 0001E52E
	v_add_f32_e64 v47, v47, 1.0                                // 000000007FDC: D101002F 0001E52F
	v_rcp_f32_e32 v44, v44                                     // 000000007FE4: 7E58452C
	v_rcp_f32_e32 v45, v45                                     // 000000007FE8: 7E5A452D
	v_rcp_f32_e32 v46, v46                                     // 000000007FEC: 7E5C452E
	v_rcp_f32_e32 v47, v47                                     // 000000007FF0: 7E5E452F
	v_mul_f32_e32 v156, v156, v44                              // 000000007FF4: 0B38599C
	v_mul_f32_e32 v157, v157, v45                              // 000000007FF8: 0B3A5B9D
	v_mul_f32_e32 v158, v158, v46                              // 000000007FFC: 0B3C5D9E
	v_mul_f32_e32 v159, v159, v47                              // 000000008000: 0B3E5F9F
	v_mul_f32_e32 v156, v156, v60                              // 000000008004: 0B38799C
	v_mul_f32_e32 v157, v157, v61                              // 000000008008: 0B3A7B9D
	v_mul_f32_e32 v158, v158, v62                              // 00000000800C: 0B3C7D9E
	v_mul_f32_e32 v159, v159, v63                              // 000000008010: 0B3E7F9F
	s_waitcnt vmcnt(20)                                        // 000000008014: BF8C4F74
	buffer_load_dwordx4 a[32:35], v40, s[12:15], 0 offen       // 000000008018: E05C1000 80832028
	v_mul_f32_e32 v44, v160, v160                              // 000000008020: 0A5941A0
	v_mul_f32_e32 v45, v161, v161                              // 000000008024: 0A5B43A1
	v_mul_f32_e32 v46, v162, v162                              // 000000008028: 0A5D45A2
	v_mul_f32_e32 v47, v163, v163                              // 00000000802C: 0A5F47A3
	v_fma_f32 v44, v44, s77, v96                               // 000000008030: D1CB002C 05809B2C
	v_fma_f32 v45, v45, s77, v96                               // 000000008038: D1CB002D 05809B2D
	v_fma_f32 v46, v46, s77, v96                               // 000000008040: D1CB002E 05809B2E
	v_fma_f32 v47, v47, s77, v96                               // 000000008048: D1CB002F 05809B2F
	v_mul_f32_e32 v44, v44, v160                               // 000000008050: 0A59412C
	v_mul_f32_e32 v45, v45, v161                               // 000000008054: 0A5B432D
	v_mul_f32_e32 v46, v46, v162                               // 000000008058: 0A5D452E
	v_mul_f32_e32 v47, v47, v163                               // 00000000805C: 0A5F472F
	v_mul_f32_e64 v44, v44, s6                                 // 000000008060: D105002C 00000D2C
	v_mul_f32_e64 v45, v45, s6                                 // 000000008068: D105002D 00000D2D
	v_mul_f32_e64 v46, v46, s6                                 // 000000008070: D105002E 00000D2E
	v_mul_f32_e64 v47, v47, s6                                 // 000000008078: D105002F 00000D2F
	v_exp_f32_e32 v44, v44                                     // 000000008080: 7E58412C
	v_exp_f32_e32 v45, v45                                     // 000000008084: 7E5A412D
	v_exp_f32_e32 v46, v46                                     // 000000008088: 7E5C412E
	v_exp_f32_e32 v47, v47                                     // 00000000808C: 7E5E412F
	buffer_load_dwordx4 a[36:39], v40, s[12:15], 0 offen offset:1024// 000000008090: E05C1400 80832428
	v_add_f32_e64 v44, v44, 1.0                                // 000000008098: D101002C 0001E52C
	v_add_f32_e64 v45, v45, 1.0                                // 0000000080A0: D101002D 0001E52D
	v_add_f32_e64 v46, v46, 1.0                                // 0000000080A8: D101002E 0001E52E
	v_add_f32_e64 v47, v47, 1.0                                // 0000000080B0: D101002F 0001E52F
	v_rcp_f32_e32 v44, v44                                     // 0000000080B8: 7E58452C
	v_rcp_f32_e32 v45, v45                                     // 0000000080BC: 7E5A452D
	v_rcp_f32_e32 v46, v46                                     // 0000000080C0: 7E5C452E
	v_rcp_f32_e32 v47, v47                                     // 0000000080C4: 7E5E452F
	v_mul_f32_e32 v160, v160, v44                              // 0000000080C8: 0B4059A0
	v_mul_f32_e32 v161, v161, v45                              // 0000000080CC: 0B425BA1
	v_mul_f32_e32 v162, v162, v46                              // 0000000080D0: 0B445DA2
	v_mul_f32_e32 v163, v163, v47                              // 0000000080D4: 0B465FA3
	v_mul_f32_e32 v160, v160, v64                              // 0000000080D8: 0B4081A0
	v_mul_f32_e32 v161, v161, v65                              // 0000000080DC: 0B4283A1
	v_mul_f32_e32 v162, v162, v66                              // 0000000080E0: 0B4485A2
	v_mul_f32_e32 v163, v163, v67                              // 0000000080E4: 0B4687A3
	buffer_load_dwordx4 a[40:43], v41, s[12:15], 0 offen       // 0000000080E8: E05C1000 80832829
	v_mul_f32_e32 v44, v164, v164                              // 0000000080F0: 0A5949A4
	v_mul_f32_e32 v45, v165, v165                              // 0000000080F4: 0A5B4BA5
	v_mul_f32_e32 v46, v166, v166                              // 0000000080F8: 0A5D4DA6
	v_mul_f32_e32 v47, v167, v167                              // 0000000080FC: 0A5F4FA7
	v_fma_f32 v44, v44, s77, v96                               // 000000008100: D1CB002C 05809B2C
	v_fma_f32 v45, v45, s77, v96                               // 000000008108: D1CB002D 05809B2D
	v_fma_f32 v46, v46, s77, v96                               // 000000008110: D1CB002E 05809B2E
	v_fma_f32 v47, v47, s77, v96                               // 000000008118: D1CB002F 05809B2F
	v_mul_f32_e32 v44, v44, v164                               // 000000008120: 0A59492C
	v_mul_f32_e32 v45, v45, v165                               // 000000008124: 0A5B4B2D
	v_mul_f32_e32 v46, v46, v166                               // 000000008128: 0A5D4D2E
	v_mul_f32_e32 v47, v47, v167                               // 00000000812C: 0A5F4F2F
	v_mul_f32_e64 v44, v44, s6                                 // 000000008130: D105002C 00000D2C
	v_mul_f32_e64 v45, v45, s6                                 // 000000008138: D105002D 00000D2D
	v_mul_f32_e64 v46, v46, s6                                 // 000000008140: D105002E 00000D2E
	v_mul_f32_e64 v47, v47, s6                                 // 000000008148: D105002F 00000D2F
	v_exp_f32_e32 v44, v44                                     // 000000008150: 7E58412C
	v_exp_f32_e32 v45, v45                                     // 000000008154: 7E5A412D
	v_exp_f32_e32 v46, v46                                     // 000000008158: 7E5C412E
	v_exp_f32_e32 v47, v47                                     // 00000000815C: 7E5E412F
	buffer_load_dwordx4 a[44:47], v41, s[12:15], 0 offen offset:1024// 000000008160: E05C1400 80832C29
	v_add_f32_e64 v44, v44, 1.0                                // 000000008168: D101002C 0001E52C
	v_add_f32_e64 v45, v45, 1.0                                // 000000008170: D101002D 0001E52D
	v_add_f32_e64 v46, v46, 1.0                                // 000000008178: D101002E 0001E52E
	v_add_f32_e64 v47, v47, 1.0                                // 000000008180: D101002F 0001E52F
	v_rcp_f32_e32 v44, v44                                     // 000000008188: 7E58452C
	v_rcp_f32_e32 v45, v45                                     // 00000000818C: 7E5A452D
	v_rcp_f32_e32 v46, v46                                     // 000000008190: 7E5C452E
	v_rcp_f32_e32 v47, v47                                     // 000000008194: 7E5E452F
	v_mul_f32_e32 v164, v164, v44                              // 000000008198: 0B4859A4
	v_mul_f32_e32 v165, v165, v45                              // 00000000819C: 0B4A5BA5
	v_mul_f32_e32 v166, v166, v46                              // 0000000081A0: 0B4C5DA6
	v_mul_f32_e32 v167, v167, v47                              // 0000000081A4: 0B4E5FA7
	v_mul_f32_e32 v164, v164, v68                              // 0000000081A8: 0B4889A4
	v_mul_f32_e32 v165, v165, v69                              // 0000000081AC: 0B4A8BA5
	v_mul_f32_e32 v166, v166, v70                              // 0000000081B0: 0B4C8DA6
	v_mul_f32_e32 v167, v167, v71                              // 0000000081B4: 0B4E8FA7
	s_waitcnt vmcnt(20)                                        // 0000000081B8: BF8C4F74
	buffer_load_dwordx4 a[48:51], v42, s[12:15], 0 offen       // 0000000081BC: E05C1000 8083302A
	v_mul_f32_e32 v44, v168, v168                              // 0000000081C4: 0A5951A8
	v_mul_f32_e32 v45, v169, v169                              // 0000000081C8: 0A5B53A9
	v_mul_f32_e32 v46, v170, v170                              // 0000000081CC: 0A5D55AA
	v_mul_f32_e32 v47, v171, v171                              // 0000000081D0: 0A5F57AB
	v_fma_f32 v44, v44, s77, v96                               // 0000000081D4: D1CB002C 05809B2C
	v_fma_f32 v45, v45, s77, v96                               // 0000000081DC: D1CB002D 05809B2D
	v_fma_f32 v46, v46, s77, v96                               // 0000000081E4: D1CB002E 05809B2E
	v_fma_f32 v47, v47, s77, v96                               // 0000000081EC: D1CB002F 05809B2F
	v_mul_f32_e32 v44, v44, v168                               // 0000000081F4: 0A59512C
	v_mul_f32_e32 v45, v45, v169                               // 0000000081F8: 0A5B532D
	v_mul_f32_e32 v46, v46, v170                               // 0000000081FC: 0A5D552E
	v_mul_f32_e32 v47, v47, v171                               // 000000008200: 0A5F572F
	v_mul_f32_e64 v44, v44, s6                                 // 000000008204: D105002C 00000D2C
	v_mul_f32_e64 v45, v45, s6                                 // 00000000820C: D105002D 00000D2D
	v_mul_f32_e64 v46, v46, s6                                 // 000000008214: D105002E 00000D2E
	v_mul_f32_e64 v47, v47, s6                                 // 00000000821C: D105002F 00000D2F
	v_exp_f32_e32 v44, v44                                     // 000000008224: 7E58412C
	v_exp_f32_e32 v45, v45                                     // 000000008228: 7E5A412D
	v_exp_f32_e32 v46, v46                                     // 00000000822C: 7E5C412E
	v_exp_f32_e32 v47, v47                                     // 000000008230: 7E5E412F
	buffer_load_dwordx4 a[52:55], v42, s[12:15], 0 offen offset:1024// 000000008234: E05C1400 8083342A
	v_add_f32_e64 v44, v44, 1.0                                // 00000000823C: D101002C 0001E52C
	v_add_f32_e64 v45, v45, 1.0                                // 000000008244: D101002D 0001E52D
	v_add_f32_e64 v46, v46, 1.0                                // 00000000824C: D101002E 0001E52E
	v_add_f32_e64 v47, v47, 1.0                                // 000000008254: D101002F 0001E52F
	v_rcp_f32_e32 v44, v44                                     // 00000000825C: 7E58452C
	v_rcp_f32_e32 v45, v45                                     // 000000008260: 7E5A452D
	v_rcp_f32_e32 v46, v46                                     // 000000008264: 7E5C452E
	v_rcp_f32_e32 v47, v47                                     // 000000008268: 7E5E452F
	v_mul_f32_e32 v168, v168, v44                              // 00000000826C: 0B5059A8
	v_mul_f32_e32 v169, v169, v45                              // 000000008270: 0B525BA9
	v_mul_f32_e32 v170, v170, v46                              // 000000008274: 0B545DAA
	v_mul_f32_e32 v171, v171, v47                              // 000000008278: 0B565FAB
	v_mul_f32_e32 v168, v168, v72                              // 00000000827C: 0B5091A8
	v_mul_f32_e32 v169, v169, v73                              // 000000008280: 0B5293A9
	v_mul_f32_e32 v170, v170, v74                              // 000000008284: 0B5495AA
	v_mul_f32_e32 v171, v171, v75                              // 000000008288: 0B5697AB
	buffer_load_dwordx4 a[56:59], v43, s[12:15], 0 offen       // 00000000828C: E05C1000 8083382B
	v_mul_f32_e32 v44, v172, v172                              // 000000008294: 0A5959AC
	v_mul_f32_e32 v45, v173, v173                              // 000000008298: 0A5B5BAD
	v_mul_f32_e32 v46, v174, v174                              // 00000000829C: 0A5D5DAE
	v_mul_f32_e32 v47, v175, v175                              // 0000000082A0: 0A5F5FAF
	v_fma_f32 v44, v44, s77, v96                               // 0000000082A4: D1CB002C 05809B2C
	v_fma_f32 v45, v45, s77, v96                               // 0000000082AC: D1CB002D 05809B2D
	v_fma_f32 v46, v46, s77, v96                               // 0000000082B4: D1CB002E 05809B2E
	v_fma_f32 v47, v47, s77, v96                               // 0000000082BC: D1CB002F 05809B2F
	v_mul_f32_e32 v44, v44, v172                               // 0000000082C4: 0A59592C
	v_mul_f32_e32 v45, v45, v173                               // 0000000082C8: 0A5B5B2D
	v_mul_f32_e32 v46, v46, v174                               // 0000000082CC: 0A5D5D2E
	v_mul_f32_e32 v47, v47, v175                               // 0000000082D0: 0A5F5F2F
	v_mul_f32_e64 v44, v44, s6                                 // 0000000082D4: D105002C 00000D2C
	v_mul_f32_e64 v45, v45, s6                                 // 0000000082DC: D105002D 00000D2D
	v_mul_f32_e64 v46, v46, s6                                 // 0000000082E4: D105002E 00000D2E
	v_mul_f32_e64 v47, v47, s6                                 // 0000000082EC: D105002F 00000D2F
	v_exp_f32_e32 v44, v44                                     // 0000000082F4: 7E58412C
	v_exp_f32_e32 v45, v45                                     // 0000000082F8: 7E5A412D
	v_exp_f32_e32 v46, v46                                     // 0000000082FC: 7E5C412E
	v_exp_f32_e32 v47, v47                                     // 000000008300: 7E5E412F
	buffer_load_dwordx4 a[60:63], v43, s[12:15], 0 offen offset:1024// 000000008304: E05C1400 80833C2B
	s_add_u32 s12, s78, s12                                    // 00000000830C: 800C0C4E
	s_addc_u32 s13, 0, s13                                     // 000000008310: 820D0D80
	v_add_f32_e64 v44, v44, 1.0                                // 000000008314: D101002C 0001E52C
	v_add_f32_e64 v45, v45, 1.0                                // 00000000831C: D101002D 0001E52D
	v_add_f32_e64 v46, v46, 1.0                                // 000000008324: D101002E 0001E52E
	v_add_f32_e64 v47, v47, 1.0                                // 00000000832C: D101002F 0001E52F
	v_rcp_f32_e32 v44, v44                                     // 000000008334: 7E58452C
	v_rcp_f32_e32 v45, v45                                     // 000000008338: 7E5A452D
	v_rcp_f32_e32 v46, v46                                     // 00000000833C: 7E5C452E
	v_rcp_f32_e32 v47, v47                                     // 000000008340: 7E5E452F
	v_mul_f32_e32 v172, v172, v44                              // 000000008344: 0B5859AC
	v_mul_f32_e32 v173, v173, v45                              // 000000008348: 0B5A5BAD
	v_mul_f32_e32 v174, v174, v46                              // 00000000834C: 0B5C5DAE
	v_mul_f32_e32 v175, v175, v47                              // 000000008350: 0B5E5FAF
	v_mul_f32_e32 v172, v172, v76                              // 000000008354: 0B5899AC
	v_mul_f32_e32 v173, v173, v77                              // 000000008358: 0B5A9BAD
	v_mul_f32_e32 v174, v174, v78                              // 00000000835C: 0B5C9DAE
	v_mul_f32_e32 v175, v175, v79                              // 000000008360: 0B5E9FAF
	s_waitcnt vmcnt(20)                                        // 000000008364: BF8C4F74
	buffer_load_dwordx4 a[64:67], v40, s[12:15], 0 offen       // 000000008368: E05C1000 80834028
	v_mul_f32_e32 v44, v176, v176                              // 000000008370: 0A5961B0
	v_mul_f32_e32 v45, v177, v177                              // 000000008374: 0A5B63B1
	v_mul_f32_e32 v46, v178, v178                              // 000000008378: 0A5D65B2
	v_mul_f32_e32 v47, v179, v179                              // 00000000837C: 0A5F67B3
	v_fma_f32 v44, v44, s77, v96                               // 000000008380: D1CB002C 05809B2C
	v_fma_f32 v45, v45, s77, v96                               // 000000008388: D1CB002D 05809B2D
	v_fma_f32 v46, v46, s77, v96                               // 000000008390: D1CB002E 05809B2E
	v_fma_f32 v47, v47, s77, v96                               // 000000008398: D1CB002F 05809B2F
	v_mul_f32_e32 v44, v44, v176                               // 0000000083A0: 0A59612C
	v_mul_f32_e32 v45, v45, v177                               // 0000000083A4: 0A5B632D
	v_mul_f32_e32 v46, v46, v178                               // 0000000083A8: 0A5D652E
	v_mul_f32_e32 v47, v47, v179                               // 0000000083AC: 0A5F672F
	v_mul_f32_e64 v44, v44, s6                                 // 0000000083B0: D105002C 00000D2C
	v_mul_f32_e64 v45, v45, s6                                 // 0000000083B8: D105002D 00000D2D
	v_mul_f32_e64 v46, v46, s6                                 // 0000000083C0: D105002E 00000D2E
	v_mul_f32_e64 v47, v47, s6                                 // 0000000083C8: D105002F 00000D2F
	v_exp_f32_e32 v44, v44                                     // 0000000083D0: 7E58412C
	v_exp_f32_e32 v45, v45                                     // 0000000083D4: 7E5A412D
	v_exp_f32_e32 v46, v46                                     // 0000000083D8: 7E5C412E
	v_exp_f32_e32 v47, v47                                     // 0000000083DC: 7E5E412F
	buffer_load_dwordx4 a[68:71], v40, s[12:15], 0 offen offset:1024// 0000000083E0: E05C1400 80834428
	v_add_f32_e64 v44, v44, 1.0                                // 0000000083E8: D101002C 0001E52C
	v_add_f32_e64 v45, v45, 1.0                                // 0000000083F0: D101002D 0001E52D
	v_add_f32_e64 v46, v46, 1.0                                // 0000000083F8: D101002E 0001E52E
	v_add_f32_e64 v47, v47, 1.0                                // 000000008400: D101002F 0001E52F
	v_rcp_f32_e32 v44, v44                                     // 000000008408: 7E58452C
	v_rcp_f32_e32 v45, v45                                     // 00000000840C: 7E5A452D
	v_rcp_f32_e32 v46, v46                                     // 000000008410: 7E5C452E
	v_rcp_f32_e32 v47, v47                                     // 000000008414: 7E5E452F
	v_mul_f32_e32 v176, v176, v44                              // 000000008418: 0B6059B0
	v_mul_f32_e32 v177, v177, v45                              // 00000000841C: 0B625BB1
	v_mul_f32_e32 v178, v178, v46                              // 000000008420: 0B645DB2
	v_mul_f32_e32 v179, v179, v47                              // 000000008424: 0B665FB3
	v_mul_f32_e32 v176, v176, v80                              // 000000008428: 0B60A1B0
	v_mul_f32_e32 v177, v177, v81                              // 00000000842C: 0B62A3B1
	v_mul_f32_e32 v178, v178, v82                              // 000000008430: 0B64A5B2
	v_mul_f32_e32 v179, v179, v83                              // 000000008434: 0B66A7B3
	buffer_load_dwordx4 a[72:75], v41, s[12:15], 0 offen       // 000000008438: E05C1000 80834829
	v_mul_f32_e32 v44, v180, v180                              // 000000008440: 0A5969B4
	v_mul_f32_e32 v45, v181, v181                              // 000000008444: 0A5B6BB5
	v_mul_f32_e32 v46, v182, v182                              // 000000008448: 0A5D6DB6
	v_mul_f32_e32 v47, v183, v183                              // 00000000844C: 0A5F6FB7
	v_fma_f32 v44, v44, s77, v96                               // 000000008450: D1CB002C 05809B2C
	v_fma_f32 v45, v45, s77, v96                               // 000000008458: D1CB002D 05809B2D
	v_fma_f32 v46, v46, s77, v96                               // 000000008460: D1CB002E 05809B2E
	v_fma_f32 v47, v47, s77, v96                               // 000000008468: D1CB002F 05809B2F
	v_mul_f32_e32 v44, v44, v180                               // 000000008470: 0A59692C
	v_mul_f32_e32 v45, v45, v181                               // 000000008474: 0A5B6B2D
	v_mul_f32_e32 v46, v46, v182                               // 000000008478: 0A5D6D2E
	v_mul_f32_e32 v47, v47, v183                               // 00000000847C: 0A5F6F2F
	v_mul_f32_e64 v44, v44, s6                                 // 000000008480: D105002C 00000D2C
	v_mul_f32_e64 v45, v45, s6                                 // 000000008488: D105002D 00000D2D
	v_mul_f32_e64 v46, v46, s6                                 // 000000008490: D105002E 00000D2E
	v_mul_f32_e64 v47, v47, s6                                 // 000000008498: D105002F 00000D2F
	v_exp_f32_e32 v44, v44                                     // 0000000084A0: 7E58412C
	v_exp_f32_e32 v45, v45                                     // 0000000084A4: 7E5A412D
	v_exp_f32_e32 v46, v46                                     // 0000000084A8: 7E5C412E
	v_exp_f32_e32 v47, v47                                     // 0000000084AC: 7E5E412F
	buffer_load_dwordx4 a[76:79], v41, s[12:15], 0 offen offset:1024// 0000000084B0: E05C1400 80834C29
	v_add_f32_e64 v44, v44, 1.0                                // 0000000084B8: D101002C 0001E52C
	v_add_f32_e64 v45, v45, 1.0                                // 0000000084C0: D101002D 0001E52D
	v_add_f32_e64 v46, v46, 1.0                                // 0000000084C8: D101002E 0001E52E
	v_add_f32_e64 v47, v47, 1.0                                // 0000000084D0: D101002F 0001E52F
	v_rcp_f32_e32 v44, v44                                     // 0000000084D8: 7E58452C
	v_rcp_f32_e32 v45, v45                                     // 0000000084DC: 7E5A452D
	v_rcp_f32_e32 v46, v46                                     // 0000000084E0: 7E5C452E
	v_rcp_f32_e32 v47, v47                                     // 0000000084E4: 7E5E452F
	v_mul_f32_e32 v180, v180, v44                              // 0000000084E8: 0B6859B4
	v_mul_f32_e32 v181, v181, v45                              // 0000000084EC: 0B6A5BB5
	v_mul_f32_e32 v182, v182, v46                              // 0000000084F0: 0B6C5DB6
	v_mul_f32_e32 v183, v183, v47                              // 0000000084F4: 0B6E5FB7
	v_mul_f32_e32 v180, v180, v84                              // 0000000084F8: 0B68A9B4
	v_mul_f32_e32 v181, v181, v85                              // 0000000084FC: 0B6AABB5
	v_mul_f32_e32 v182, v182, v86                              // 000000008500: 0B6CADB6
	v_mul_f32_e32 v183, v183, v87                              // 000000008504: 0B6EAFB7
	s_waitcnt vmcnt(20)                                        // 000000008508: BF8C4F74
	buffer_load_dwordx4 a[80:83], v42, s[12:15], 0 offen       // 00000000850C: E05C1000 8083502A
	v_mul_f32_e32 v44, v184, v184                              // 000000008514: 0A5971B8
	v_mul_f32_e32 v45, v185, v185                              // 000000008518: 0A5B73B9
	v_mul_f32_e32 v46, v186, v186                              // 00000000851C: 0A5D75BA
	v_mul_f32_e32 v47, v187, v187                              // 000000008520: 0A5F77BB
	v_fma_f32 v44, v44, s77, v96                               // 000000008524: D1CB002C 05809B2C
	v_fma_f32 v45, v45, s77, v96                               // 00000000852C: D1CB002D 05809B2D
	v_fma_f32 v46, v46, s77, v96                               // 000000008534: D1CB002E 05809B2E
	v_fma_f32 v47, v47, s77, v96                               // 00000000853C: D1CB002F 05809B2F
	v_mul_f32_e32 v44, v44, v184                               // 000000008544: 0A59712C
	v_mul_f32_e32 v45, v45, v185                               // 000000008548: 0A5B732D
	v_mul_f32_e32 v46, v46, v186                               // 00000000854C: 0A5D752E
	v_mul_f32_e32 v47, v47, v187                               // 000000008550: 0A5F772F
	v_mul_f32_e64 v44, v44, s6                                 // 000000008554: D105002C 00000D2C
	v_mul_f32_e64 v45, v45, s6                                 // 00000000855C: D105002D 00000D2D
	v_mul_f32_e64 v46, v46, s6                                 // 000000008564: D105002E 00000D2E
	v_mul_f32_e64 v47, v47, s6                                 // 00000000856C: D105002F 00000D2F
	v_exp_f32_e32 v44, v44                                     // 000000008574: 7E58412C
	v_exp_f32_e32 v45, v45                                     // 000000008578: 7E5A412D
	v_exp_f32_e32 v46, v46                                     // 00000000857C: 7E5C412E
	v_exp_f32_e32 v47, v47                                     // 000000008580: 7E5E412F
	buffer_load_dwordx4 a[84:87], v42, s[12:15], 0 offen offset:1024// 000000008584: E05C1400 8083542A
	v_add_f32_e64 v44, v44, 1.0                                // 00000000858C: D101002C 0001E52C
	v_add_f32_e64 v45, v45, 1.0                                // 000000008594: D101002D 0001E52D
	v_add_f32_e64 v46, v46, 1.0                                // 00000000859C: D101002E 0001E52E
	v_add_f32_e64 v47, v47, 1.0                                // 0000000085A4: D101002F 0001E52F
	v_rcp_f32_e32 v44, v44                                     // 0000000085AC: 7E58452C
	v_rcp_f32_e32 v45, v45                                     // 0000000085B0: 7E5A452D
	v_rcp_f32_e32 v46, v46                                     // 0000000085B4: 7E5C452E
	v_rcp_f32_e32 v47, v47                                     // 0000000085B8: 7E5E452F
	v_mul_f32_e32 v184, v184, v44                              // 0000000085BC: 0B7059B8
	v_mul_f32_e32 v185, v185, v45                              // 0000000085C0: 0B725BB9
	v_mul_f32_e32 v186, v186, v46                              // 0000000085C4: 0B745DBA
	v_mul_f32_e32 v187, v187, v47                              // 0000000085C8: 0B765FBB
	v_mul_f32_e32 v184, v184, v88                              // 0000000085CC: 0B70B1B8
	v_mul_f32_e32 v185, v185, v89                              // 0000000085D0: 0B72B3B9
	v_mul_f32_e32 v186, v186, v90                              // 0000000085D4: 0B74B5BA
	v_mul_f32_e32 v187, v187, v91                              // 0000000085D8: 0B76B7BB
	buffer_load_dwordx4 a[88:91], v43, s[12:15], 0 offen       // 0000000085DC: E05C1000 8083582B
	v_mul_f32_e32 v44, v188, v188                              // 0000000085E4: 0A5979BC
	v_mul_f32_e32 v45, v189, v189                              // 0000000085E8: 0A5B7BBD
	v_mul_f32_e32 v46, v190, v190                              // 0000000085EC: 0A5D7DBE
	v_mul_f32_e32 v47, v191, v191                              // 0000000085F0: 0A5F7FBF
	v_fma_f32 v44, v44, s77, v96                               // 0000000085F4: D1CB002C 05809B2C
	v_fma_f32 v45, v45, s77, v96                               // 0000000085FC: D1CB002D 05809B2D
	v_fma_f32 v46, v46, s77, v96                               // 000000008604: D1CB002E 05809B2E
	v_fma_f32 v47, v47, s77, v96                               // 00000000860C: D1CB002F 05809B2F
	v_mul_f32_e32 v44, v44, v188                               // 000000008614: 0A59792C
	v_mul_f32_e32 v45, v45, v189                               // 000000008618: 0A5B7B2D
	v_mul_f32_e32 v46, v46, v190                               // 00000000861C: 0A5D7D2E
	v_mul_f32_e32 v47, v47, v191                               // 000000008620: 0A5F7F2F
	v_mul_f32_e64 v44, v44, s6                                 // 000000008624: D105002C 00000D2C
	v_mul_f32_e64 v45, v45, s6                                 // 00000000862C: D105002D 00000D2D
	v_mul_f32_e64 v46, v46, s6                                 // 000000008634: D105002E 00000D2E
	v_mul_f32_e64 v47, v47, s6                                 // 00000000863C: D105002F 00000D2F
	v_exp_f32_e32 v44, v44                                     // 000000008644: 7E58412C
	v_exp_f32_e32 v45, v45                                     // 000000008648: 7E5A412D
	v_exp_f32_e32 v46, v46                                     // 00000000864C: 7E5C412E
	v_exp_f32_e32 v47, v47                                     // 000000008650: 7E5E412F
	buffer_load_dwordx4 a[92:95], v43, s[12:15], 0 offen offset:1024// 000000008654: E05C1400 80835C2B
	v_add_f32_e64 v44, v44, 1.0                                // 00000000865C: D101002C 0001E52C
	v_add_f32_e64 v45, v45, 1.0                                // 000000008664: D101002D 0001E52D
	v_add_f32_e64 v46, v46, 1.0                                // 00000000866C: D101002E 0001E52E
	v_add_f32_e64 v47, v47, 1.0                                // 000000008674: D101002F 0001E52F
	v_rcp_f32_e32 v44, v44                                     // 00000000867C: 7E58452C
	v_rcp_f32_e32 v45, v45                                     // 000000008680: 7E5A452D
	v_rcp_f32_e32 v46, v46                                     // 000000008684: 7E5C452E
	v_rcp_f32_e32 v47, v47                                     // 000000008688: 7E5E452F
	v_mul_f32_e32 v188, v188, v44                              // 00000000868C: 0B7859BC
	v_mul_f32_e32 v189, v189, v45                              // 000000008690: 0B7A5BBD
	v_mul_f32_e32 v190, v190, v46                              // 000000008694: 0B7C5DBE
	v_mul_f32_e32 v191, v191, v47                              // 000000008698: 0B7E5FBF
	v_mul_f32_e32 v188, v188, v92                              // 00000000869C: 0B78B9BC
	v_mul_f32_e32 v189, v189, v93                              // 0000000086A0: 0B7ABBBD
	v_mul_f32_e32 v190, v190, v94                              // 0000000086A4: 0B7CBDBE
	v_mul_f32_e32 v191, v191, v95                              // 0000000086A8: 0B7EBFBF
	buffer_load_dword v22, v5, s[16:19], 0 offen               // 0000000086AC: E0501000 80041605
	v_mov_b32_e32 v128, 0x358637bd                             // 0000000086B4: 7F0002FF 358637BD
	v_mov_b32_e32 v129, 0x358637bd                             // 0000000086BC: 7F0202FF 358637BD
	v_max3_f32 v128, |v144|, |v145|, v128                      // 0000000086C4: D1D30380 06032390
	v_max3_f32 v128, |v146|, |v147|, v128                      // 0000000086CC: D1D30380 06032792
	v_max3_f32 v129, |v148|, |v149|, v129                      // 0000000086D4: D1D30381 06072B94
	v_max3_f32 v129, |v150|, |v151|, v129                      // 0000000086DC: D1D30381 06072F96
	v_max3_f32 v128, |v152|, |v153|, v128                      // 0000000086E4: D1D30380 06033398
	v_max3_f32 v128, |v154|, |v155|, v128                      // 0000000086EC: D1D30380 0603379A
	v_max3_f32 v129, |v156|, |v157|, v129                      // 0000000086F4: D1D30381 06073B9C
	v_max3_f32 v129, |v158|, |v159|, v129                      // 0000000086FC: D1D30381 06073F9E
	v_mov_b32_e32 v44, v128                                    // 000000008704: 7E580380
	s_nop 1                                                    // 000000008708: BF800001
	v_permlane32_swap_b32_e32 v44, v128                        // 00000000870C: 7E58B580
	v_max_f32_e32 v128, v44, v128                              // 000000008710: 1701012C
	v_mov_b32_e32 v44, v128                                    // 000000008714: 7E580380
	s_nop 1                                                    // 000000008718: BF800001
	v_permlane16_swap_b32_e32 v44, v128                        // 00000000871C: 7E58B380
	v_max_f32_e32 v128, v44, v128                              // 000000008720: 1701012C
	v_mov_b32_e32 v44, v129                                    // 000000008724: 7E580381
	s_nop 1                                                    // 000000008728: BF800001
	v_permlane32_swap_b32_e32 v44, v129                        // 00000000872C: 7E58B581
	v_max_f32_e32 v129, v44, v129                              // 000000008730: 1703032C
	v_mov_b32_e32 v44, v129                                    // 000000008734: 7E580381
	s_nop 1                                                    // 000000008738: BF800001
	v_permlane16_swap_b32_e32 v44, v129                        // 00000000873C: 7E58B381
	v_max_f32_e32 v129, v44, v129                              // 000000008740: 1703032C
	v_lshlrev_b32_e32 v44, 2, v0                               // 000000008744: 24580082
	s_mul_i32 s60, 64, s7                                      // 000000008748: 923C07C0
	v_add_u32_e32 v44, s60, v44                                // 00000000874C: 6858583C
	s_mov_b32 s60, 0xffff                                      // 000000008750: BEBC00FF 0000FFFF
	s_mov_b32 s61, 0                                           // 000000008758: BEBD0080
	s_mov_b64 exec, s[60:61]                                   // 00000000875C: BEFE013C
	ds_write_b32 v44, v128 offset:18944                        // 000000008760: D81A4A00 0000802C
	ds_write_b32 v44, v129 offset:19200                        // 000000008768: D81A4B00 0000812C
	s_mov_b32 s60, -1                                          // 000000008770: BEBC00C1
	s_mov_b32 s61, -1                                          // 000000008774: BEBD00C1
	s_mov_b64 exec, s[60:61]                                   // 000000008778: BEFE013C
	s_waitcnt lgkmcnt(0)                                       // 00000000877C: BF8CC07F
	s_barrier                                                  // 000000008780: BF8A0000
	v_lshlrev_b32_e32 v44, 2, v0                               // 000000008784: 24580082
	ds_read_b32 v96, v44 offset:18944                          // 000000008788: D86C4A00 6000002C
	ds_read_b32 v97, v44 offset:19200                          // 000000008790: D86C4B00 6100002C
	s_waitcnt lgkmcnt(0)                                       // 000000008798: BF8CC07F
	v_mov_b32_e32 v44, v96                                     // 00000000879C: 7E580360
	s_nop 1                                                    // 0000000087A0: BF800001
	v_permlane32_swap_b32_e32 v44, v96                         // 0000000087A4: 7E58B560
	v_max_f32_e32 v96, v44, v96                                // 0000000087A8: 16C0C12C
	v_mov_b32_e32 v44, v96                                     // 0000000087AC: 7E580360
	s_nop 1                                                    // 0000000087B0: BF800001
	v_permlane16_swap_b32_e32 v44, v96                         // 0000000087B4: 7E58B360
	v_max_f32_e32 v96, v44, v96                                // 0000000087B8: 16C0C12C
	v_mov_b32_e32 v44, v97                                     // 0000000087BC: 7E580361
	s_nop 1                                                    // 0000000087C0: BF800001
	v_permlane32_swap_b32_e32 v44, v97                         // 0000000087C4: 7E58B561
	v_max_f32_e32 v97, v44, v97                                // 0000000087C8: 16C2C32C
	v_mov_b32_e32 v44, v97                                     // 0000000087CC: 7E580361
	s_nop 1                                                    // 0000000087D0: BF800001
	v_permlane16_swap_b32_e32 v44, v97                         // 0000000087D4: 7E58B361
	v_max_f32_e32 v97, v44, v97                                // 0000000087D8: 16C2C32C
	v_max_f32_e32 v128, v96, v128                              // 0000000087DC: 17010160
	v_max_f32_e32 v129, v97, v129                              // 0000000087E0: 17030361
	v_rcp_f32_e32 v128, v128                                   // 0000000087E4: 7F004580
	v_rcp_f32_e32 v129, v129                                   // 0000000087E8: 7F024581
	v_mov_b32_e32 v44, 0x43e00000                              // 0000000087EC: 7E5802FF 43E00000
	v_mul_f32_e32 v128, v44, v128                              // 0000000087F4: 0B01012C
	v_mul_f32_e32 v129, v44, v129                              // 0000000087F8: 0B03032C
	v_mul_f32_e32 v144, v128, v144                             // 0000000087FC: 0B212180
	v_mul_f32_e32 v145, v128, v145                             // 000000008800: 0B232380
	v_mul_f32_e32 v146, v128, v146                             // 000000008804: 0B252580
	v_mul_f32_e32 v147, v128, v147                             // 000000008808: 0B272780
	v_cvt_pk_fp8_f32 v144, v144, v145                          // 00000000880C: D2A20090 00032390
	v_cvt_pk_fp8_f32 v144, v146, v147 op_sel:[0,0,1]           // 000000008814: D2A24090 00032792
	v_mul_f32_e32 v148, v129, v148                             // 00000000881C: 0B292981
	v_mul_f32_e32 v149, v129, v149                             // 000000008820: 0B2B2B81
	v_mul_f32_e32 v150, v129, v150                             // 000000008824: 0B2D2D81
	v_mul_f32_e32 v151, v129, v151                             // 000000008828: 0B2F2F81
	v_cvt_pk_fp8_f32 v145, v148, v149                          // 00000000882C: D2A20091 00032B94
	v_cvt_pk_fp8_f32 v145, v150, v151 op_sel:[0,0,1]           // 000000008834: D2A24091 00032F96
	v_mul_f32_e32 v152, v128, v152                             // 00000000883C: 0B313180
	v_mul_f32_e32 v153, v128, v153                             // 000000008840: 0B333380
	v_mul_f32_e32 v154, v128, v154                             // 000000008844: 0B353580
	v_mul_f32_e32 v155, v128, v155                             // 000000008848: 0B373780
	v_cvt_pk_fp8_f32 v146, v152, v153                          // 00000000884C: D2A20092 00033398
	v_cvt_pk_fp8_f32 v146, v154, v155 op_sel:[0,0,1]           // 000000008854: D2A24092 0003379A
	v_mul_f32_e32 v156, v129, v156                             // 00000000885C: 0B393981
	v_mul_f32_e32 v157, v129, v157                             // 000000008860: 0B3B3B81
	v_mul_f32_e32 v158, v129, v158                             // 000000008864: 0B3D3D81
	v_mul_f32_e32 v159, v129, v159                             // 000000008868: 0B3F3F81
	v_cvt_pk_fp8_f32 v147, v156, v157                          // 00000000886C: D2A20093 00033B9C
	v_cvt_pk_fp8_f32 v147, v158, v159 op_sel:[0,0,1]           // 000000008874: D2A24093 00033F9E
	v_rcp_f32_e32 v134, v128                                   // 00000000887C: 7F0C4580
	v_rcp_f32_e32 v135, v129                                   // 000000008880: 7F0E4581
	v_mov_b32_e32 v130, 0x358637bd                             // 000000008884: 7F0402FF 358637BD
	v_mov_b32_e32 v131, 0x358637bd                             // 00000000888C: 7F0602FF 358637BD
	v_max3_f32 v130, |v160|, |v161|, v130                      // 000000008894: D1D30382 060B43A0
	v_max3_f32 v130, |v162|, |v163|, v130                      // 00000000889C: D1D30382 060B47A2
	v_max3_f32 v131, |v164|, |v165|, v131                      // 0000000088A4: D1D30383 060F4BA4
	v_max3_f32 v131, |v166|, |v167|, v131                      // 0000000088AC: D1D30383 060F4FA6
	v_max3_f32 v130, |v168|, |v169|, v130                      // 0000000088B4: D1D30382 060B53A8
	v_max3_f32 v130, |v170|, |v171|, v130                      // 0000000088BC: D1D30382 060B57AA
	v_max3_f32 v131, |v172|, |v173|, v131                      // 0000000088C4: D1D30383 060F5BAC
	v_max3_f32 v131, |v174|, |v175|, v131                      // 0000000088CC: D1D30383 060F5FAE
	v_mov_b32_e32 v44, v130                                    // 0000000088D4: 7E580382
	s_nop 1                                                    // 0000000088D8: BF800001
	v_permlane32_swap_b32_e32 v44, v130                        // 0000000088DC: 7E58B582
	v_max_f32_e32 v130, v44, v130                              // 0000000088E0: 1705052C
	v_mov_b32_e32 v44, v130                                    // 0000000088E4: 7E580382
	s_nop 1                                                    // 0000000088E8: BF800001
	v_permlane16_swap_b32_e32 v44, v130                        // 0000000088EC: 7E58B382
	v_max_f32_e32 v130, v44, v130                              // 0000000088F0: 1705052C
	v_mov_b32_e32 v44, v131                                    // 0000000088F4: 7E580383
	s_nop 1                                                    // 0000000088F8: BF800001
	v_permlane32_swap_b32_e32 v44, v131                        // 0000000088FC: 7E58B583
	v_max_f32_e32 v131, v44, v131                              // 000000008900: 1707072C
	v_mov_b32_e32 v44, v131                                    // 000000008904: 7E580383
	s_nop 1                                                    // 000000008908: BF800001
	v_permlane16_swap_b32_e32 v44, v131                        // 00000000890C: 7E58B383
	v_max_f32_e32 v131, v44, v131                              // 000000008910: 1707072C
	v_lshlrev_b32_e32 v44, 2, v0                               // 000000008914: 24580082
	s_mul_i32 s60, 64, s7                                      // 000000008918: 923C07C0
	v_add_u32_e32 v44, s60, v44                                // 00000000891C: 6858583C
	s_mov_b32 s60, 0xffff                                      // 000000008920: BEBC00FF 0000FFFF
	s_mov_b32 s61, 0                                           // 000000008928: BEBD0080
	s_mov_b64 exec, s[60:61]                                   // 00000000892C: BEFE013C
	ds_write_b32 v44, v130 offset:18944                        // 000000008930: D81A4A00 0000822C
	ds_write_b32 v44, v131 offset:19200                        // 000000008938: D81A4B00 0000832C
	s_mov_b32 s60, -1                                          // 000000008940: BEBC00C1
	s_mov_b32 s61, -1                                          // 000000008944: BEBD00C1
	s_mov_b64 exec, s[60:61]                                   // 000000008948: BEFE013C
	s_waitcnt lgkmcnt(0)                                       // 00000000894C: BF8CC07F
	s_barrier                                                  // 000000008950: BF8A0000
	v_lshlrev_b32_e32 v44, 2, v0                               // 000000008954: 24580082
	ds_read_b32 v96, v44 offset:18944                          // 000000008958: D86C4A00 6000002C
	ds_read_b32 v97, v44 offset:19200                          // 000000008960: D86C4B00 6100002C
	s_waitcnt lgkmcnt(0)                                       // 000000008968: BF8CC07F
	v_mov_b32_e32 v44, v96                                     // 00000000896C: 7E580360
	s_nop 1                                                    // 000000008970: BF800001
	v_permlane32_swap_b32_e32 v44, v96                         // 000000008974: 7E58B560
	v_max_f32_e32 v96, v44, v96                                // 000000008978: 16C0C12C
	v_mov_b32_e32 v44, v96                                     // 00000000897C: 7E580360
	s_nop 1                                                    // 000000008980: BF800001
	v_permlane16_swap_b32_e32 v44, v96                         // 000000008984: 7E58B360
	v_max_f32_e32 v96, v44, v96                                // 000000008988: 16C0C12C
	v_mov_b32_e32 v44, v97                                     // 00000000898C: 7E580361
	s_nop 1                                                    // 000000008990: BF800001
	v_permlane32_swap_b32_e32 v44, v97                         // 000000008994: 7E58B561
	v_max_f32_e32 v97, v44, v97                                // 000000008998: 16C2C32C
	v_mov_b32_e32 v44, v97                                     // 00000000899C: 7E580361
	s_nop 1                                                    // 0000000089A0: BF800001
	v_permlane16_swap_b32_e32 v44, v97                         // 0000000089A4: 7E58B361
	v_max_f32_e32 v97, v44, v97                                // 0000000089A8: 16C2C32C
	v_max_f32_e32 v130, v96, v130                              // 0000000089AC: 17050560
	v_max_f32_e32 v131, v97, v131                              // 0000000089B0: 17070761
	v_rcp_f32_e32 v130, v130                                   // 0000000089B4: 7F044582
	v_rcp_f32_e32 v131, v131                                   // 0000000089B8: 7F064583
	v_mov_b32_e32 v44, 0x43e00000                              // 0000000089BC: 7E5802FF 43E00000
	v_mul_f32_e32 v130, v44, v130                              // 0000000089C4: 0B05052C
	v_mul_f32_e32 v131, v44, v131                              // 0000000089C8: 0B07072C
	v_mul_f32_e32 v160, v130, v160                             // 0000000089CC: 0B414182
	v_mul_f32_e32 v161, v130, v161                             // 0000000089D0: 0B434382
	v_mul_f32_e32 v162, v130, v162                             // 0000000089D4: 0B454582
	v_mul_f32_e32 v163, v130, v163                             // 0000000089D8: 0B474782
	v_cvt_pk_fp8_f32 v148, v160, v161                          // 0000000089DC: D2A20094 000343A0
	v_cvt_pk_fp8_f32 v148, v162, v163 op_sel:[0,0,1]           // 0000000089E4: D2A24094 000347A2
	v_mul_f32_e32 v164, v131, v164                             // 0000000089EC: 0B494983
	v_mul_f32_e32 v165, v131, v165                             // 0000000089F0: 0B4B4B83
	v_mul_f32_e32 v166, v131, v166                             // 0000000089F4: 0B4D4D83
	v_mul_f32_e32 v167, v131, v167                             // 0000000089F8: 0B4F4F83
	v_cvt_pk_fp8_f32 v149, v164, v165                          // 0000000089FC: D2A20095 00034BA4
	v_cvt_pk_fp8_f32 v149, v166, v167 op_sel:[0,0,1]           // 000000008A04: D2A24095 00034FA6
	v_mul_f32_e32 v168, v130, v168                             // 000000008A0C: 0B515182
	v_mul_f32_e32 v169, v130, v169                             // 000000008A10: 0B535382
	v_mul_f32_e32 v170, v130, v170                             // 000000008A14: 0B555582
	v_mul_f32_e32 v171, v130, v171                             // 000000008A18: 0B575782
	v_cvt_pk_fp8_f32 v150, v168, v169                          // 000000008A1C: D2A20096 000353A8
	v_cvt_pk_fp8_f32 v150, v170, v171 op_sel:[0,0,1]           // 000000008A24: D2A24096 000357AA
	v_mul_f32_e32 v172, v131, v172                             // 000000008A2C: 0B595983
	v_mul_f32_e32 v173, v131, v173                             // 000000008A30: 0B5B5B83
	v_mul_f32_e32 v174, v131, v174                             // 000000008A34: 0B5D5D83
	v_mul_f32_e32 v175, v131, v175                             // 000000008A38: 0B5F5F83
	v_cvt_pk_fp8_f32 v151, v172, v173                          // 000000008A3C: D2A20097 00035BAC
	v_cvt_pk_fp8_f32 v151, v174, v175 op_sel:[0,0,1]           // 000000008A44: D2A24097 00035FAE
	v_rcp_f32_e32 v136, v130                                   // 000000008A4C: 7F104582
	v_rcp_f32_e32 v137, v131                                   // 000000008A50: 7F124583
	v_mov_b32_e32 v132, 0x358637bd                             // 000000008A54: 7F0802FF 358637BD
	v_mov_b32_e32 v133, 0x358637bd                             // 000000008A5C: 7F0A02FF 358637BD
	v_max3_f32 v132, |v176|, |v177|, v132                      // 000000008A64: D1D30384 061363B0
	v_max3_f32 v132, |v178|, |v179|, v132                      // 000000008A6C: D1D30384 061367B2
	v_max3_f32 v133, |v180|, |v181|, v133                      // 000000008A74: D1D30385 06176BB4
	v_max3_f32 v133, |v182|, |v183|, v133                      // 000000008A7C: D1D30385 06176FB6
	v_max3_f32 v132, |v184|, |v185|, v132                      // 000000008A84: D1D30384 061373B8
	v_max3_f32 v132, |v186|, |v187|, v132                      // 000000008A8C: D1D30384 061377BA
	v_max3_f32 v133, |v188|, |v189|, v133                      // 000000008A94: D1D30385 06177BBC
	v_max3_f32 v133, |v190|, |v191|, v133                      // 000000008A9C: D1D30385 06177FBE
	v_mov_b32_e32 v44, v132                                    // 000000008AA4: 7E580384
	s_nop 1                                                    // 000000008AA8: BF800001
	v_permlane32_swap_b32_e32 v44, v132                        // 000000008AAC: 7E58B584
	v_max_f32_e32 v132, v44, v132                              // 000000008AB0: 1709092C
	v_mov_b32_e32 v44, v132                                    // 000000008AB4: 7E580384
	s_nop 1                                                    // 000000008AB8: BF800001
	v_permlane16_swap_b32_e32 v44, v132                        // 000000008ABC: 7E58B384
	v_max_f32_e32 v132, v44, v132                              // 000000008AC0: 1709092C
	v_mov_b32_e32 v44, v133                                    // 000000008AC4: 7E580385
	s_nop 1                                                    // 000000008AC8: BF800001
	v_permlane32_swap_b32_e32 v44, v133                        // 000000008ACC: 7E58B585
	v_max_f32_e32 v133, v44, v133                              // 000000008AD0: 170B0B2C
	v_mov_b32_e32 v44, v133                                    // 000000008AD4: 7E580385
	s_nop 1                                                    // 000000008AD8: BF800001
	v_permlane16_swap_b32_e32 v44, v133                        // 000000008ADC: 7E58B385
	v_max_f32_e32 v133, v44, v133                              // 000000008AE0: 170B0B2C
	v_lshlrev_b32_e32 v44, 2, v0                               // 000000008AE4: 24580082
	s_mul_i32 s60, 64, s7                                      // 000000008AE8: 923C07C0
	v_add_u32_e32 v44, s60, v44                                // 000000008AEC: 6858583C
	s_mov_b32 s60, 0xffff                                      // 000000008AF0: BEBC00FF 0000FFFF
	s_mov_b32 s61, 0                                           // 000000008AF8: BEBD0080
	s_mov_b64 exec, s[60:61]                                   // 000000008AFC: BEFE013C
	ds_write_b32 v44, v132 offset:18944                        // 000000008B00: D81A4A00 0000842C
	ds_write_b32 v44, v133 offset:19200                        // 000000008B08: D81A4B00 0000852C
	s_mov_b32 s60, -1                                          // 000000008B10: BEBC00C1
	s_mov_b32 s61, -1                                          // 000000008B14: BEBD00C1
	s_mov_b64 exec, s[60:61]                                   // 000000008B18: BEFE013C
	s_waitcnt lgkmcnt(0)                                       // 000000008B1C: BF8CC07F
	s_barrier                                                  // 000000008B20: BF8A0000
	v_lshlrev_b32_e32 v44, 2, v0                               // 000000008B24: 24580082
	ds_read_b32 v96, v44 offset:18944                          // 000000008B28: D86C4A00 6000002C
	ds_read_b32 v97, v44 offset:19200                          // 000000008B30: D86C4B00 6100002C
	s_waitcnt lgkmcnt(0)                                       // 000000008B38: BF8CC07F
	v_mov_b32_e32 v44, v96                                     // 000000008B3C: 7E580360
	s_nop 1                                                    // 000000008B40: BF800001
	v_permlane32_swap_b32_e32 v44, v96                         // 000000008B44: 7E58B560
	v_max_f32_e32 v96, v44, v96                                // 000000008B48: 16C0C12C
	v_mov_b32_e32 v44, v96                                     // 000000008B4C: 7E580360
	s_nop 1                                                    // 000000008B50: BF800001
	v_permlane16_swap_b32_e32 v44, v96                         // 000000008B54: 7E58B360
	v_max_f32_e32 v96, v44, v96                                // 000000008B58: 16C0C12C
	v_mov_b32_e32 v44, v97                                     // 000000008B5C: 7E580361
	s_nop 1                                                    // 000000008B60: BF800001
	v_permlane32_swap_b32_e32 v44, v97                         // 000000008B64: 7E58B561
	v_max_f32_e32 v97, v44, v97                                // 000000008B68: 16C2C32C
	v_mov_b32_e32 v44, v97                                     // 000000008B6C: 7E580361
	s_nop 1                                                    // 000000008B70: BF800001
	v_permlane16_swap_b32_e32 v44, v97                         // 000000008B74: 7E58B361
	v_max_f32_e32 v97, v44, v97                                // 000000008B78: 16C2C32C
	v_max_f32_e32 v132, v96, v132                              // 000000008B7C: 17090960
	v_max_f32_e32 v133, v97, v133                              // 000000008B80: 170B0B61
	v_rcp_f32_e32 v132, v132                                   // 000000008B84: 7F084584
	v_rcp_f32_e32 v133, v133                                   // 000000008B88: 7F0A4585
	v_mov_b32_e32 v44, 0x43e00000                              // 000000008B8C: 7E5802FF 43E00000
	v_mul_f32_e32 v132, v44, v132                              // 000000008B94: 0B09092C
	v_mul_f32_e32 v133, v44, v133                              // 000000008B98: 0B0B0B2C
	v_mul_f32_e32 v176, v132, v176                             // 000000008B9C: 0B616184
	v_mul_f32_e32 v177, v132, v177                             // 000000008BA0: 0B636384
	v_mul_f32_e32 v178, v132, v178                             // 000000008BA4: 0B656584
	v_mul_f32_e32 v179, v132, v179                             // 000000008BA8: 0B676784
	v_cvt_pk_fp8_f32 v152, v176, v177                          // 000000008BAC: D2A20098 000363B0
	v_cvt_pk_fp8_f32 v152, v178, v179 op_sel:[0,0,1]           // 000000008BB4: D2A24098 000367B2
	v_mul_f32_e32 v180, v133, v180                             // 000000008BBC: 0B696985
	v_mul_f32_e32 v181, v133, v181                             // 000000008BC0: 0B6B6B85
	v_mul_f32_e32 v182, v133, v182                             // 000000008BC4: 0B6D6D85
	v_mul_f32_e32 v183, v133, v183                             // 000000008BC8: 0B6F6F85
	v_cvt_pk_fp8_f32 v153, v180, v181                          // 000000008BCC: D2A20099 00036BB4
	v_cvt_pk_fp8_f32 v153, v182, v183 op_sel:[0,0,1]           // 000000008BD4: D2A24099 00036FB6
	v_mul_f32_e32 v184, v132, v184                             // 000000008BDC: 0B717184
	v_mul_f32_e32 v185, v132, v185                             // 000000008BE0: 0B737384
	v_mul_f32_e32 v186, v132, v186                             // 000000008BE4: 0B757584
	v_mul_f32_e32 v187, v132, v187                             // 000000008BE8: 0B777784
	v_cvt_pk_fp8_f32 v154, v184, v185                          // 000000008BEC: D2A2009A 000373B8
	v_cvt_pk_fp8_f32 v154, v186, v187 op_sel:[0,0,1]           // 000000008BF4: D2A2409A 000377BA
	v_mul_f32_e32 v188, v133, v188                             // 000000008BFC: 0B797985
	v_mul_f32_e32 v189, v133, v189                             // 000000008C00: 0B7B7B85
	v_mul_f32_e32 v190, v133, v190                             // 000000008C04: 0B7D7D85
	v_mul_f32_e32 v191, v133, v191                             // 000000008C08: 0B7F7F85
	v_cvt_pk_fp8_f32 v155, v188, v189                          // 000000008C0C: D2A2009B 00037BBC
	v_cvt_pk_fp8_f32 v155, v190, v191 op_sel:[0,0,1]           // 000000008C14: D2A2409B 00037FBE
	v_rcp_f32_e32 v138, v132                                   // 000000008C1C: 7F144584
	v_rcp_f32_e32 v139, v133                                   // 000000008C20: 7F164585
	v_lshlrev_b32_e32 v44, 2, v0                               // 000000008C24: 24580082
	s_mul_i32 s60, s82, s71                                    // 000000008C28: 923C4752
	v_add_u32_e64 v64, v44, s60                                // 000000008C2C: D1340040 0000792C
	v_mov_b32_e32 v65, 0                                       // 000000008C34: 7E820280
	s_mul_i32 s60, s83, s71                                    // 000000008C38: 923C4753
	v_add_u32_e64 v66, v44, s60                                // 000000008C3C: D1340042 0000792C
	v_mov_b32_e32 v67, 0                                       // 000000008C44: 7E860280
	s_mul_i32 s60, s84, s71                                    // 000000008C48: 923C4754
	v_add_u32_e64 v68, v44, s60                                // 000000008C4C: D1340044 0000792C
	v_mov_b32_e32 v69, 0                                       // 000000008C54: 7E8A0280
	s_mul_i32 s60, s85, s71                                    // 000000008C58: 923C4755
	v_add_u32_e64 v70, v44, s60                                // 000000008C5C: D1340046 0000792C
	v_mov_b32_e32 v71, 0                                       // 000000008C64: 7E8E0280
	s_mul_i32 s60, s86, s71                                    // 000000008C68: 923C4756
	v_add_u32_e64 v72, v44, s60                                // 000000008C6C: D1340048 0000792C
	v_mov_b32_e32 v73, 0                                       // 000000008C74: 7E920280
	s_mul_i32 s60, s87, s71                                    // 000000008C78: 923C4757
	v_add_u32_e64 v74, v44, s60                                // 000000008C7C: D134004A 0000792C
	v_mov_b32_e32 v75, 0                                       // 000000008C84: 7E960280
	s_mul_i32 s60, s88, s71                                    // 000000008C88: 923C4758
	v_add_u32_e64 v76, v44, s60                                // 000000008C8C: D134004C 0000792C
	v_mov_b32_e32 v77, 0                                       // 000000008C94: 7E9A0280
	s_mul_i32 s60, s89, s71                                    // 000000008C98: 923C4759
	v_add_u32_e64 v78, v44, s60                                // 000000008C9C: D134004E 0000792C
	v_mov_b32_e32 v79, 0                                       // 000000008CA4: 7E9E0280
	v_lshrrev_b32_e32 v44, 5, v0                               // 000000008CA8: 20580085
	v_lshlrev_b32_e32 v45, 6, v44                              // 000000008CAC: 245A5886
	v_and_b32_e32 v44, 31, v0                                  // 000000008CB0: 2658009F
	v_lshrrev_b32_e32 v46, 4, v44                              // 000000008CB4: 205C5884
	v_add_u32_e32 v45, v46, v45                                // 000000008CB8: 685A5B2E
	v_and_b32_e32 v44, 15, v0                                  // 000000008CBC: 2658008F
	v_lshlrev_b32_e32 v44, 1, v44                              // 000000008CC0: 24585881
	v_add_u32_e32 v45, v44, v45                                // 000000008CC4: 685A5B2C
	v_lshlrev_b32_e32 v44, 2, v45                              // 000000008CC8: 24585A82
	s_mov_b32 s60, 0                                           // 000000008CCC: BEBC0080
	s_lshr_b32 s61, s7, 1                                      // 000000008CD0: 8F3D8107
	s_mul_i32 s61, s61, 0x200                                  // 000000008CD4: 923DFF3D 00000200
	s_add_u32 s60, s61, s60                                    // 000000008CDC: 803C3C3D
	s_and_b32 s61, s7, 1                                       // 000000008CE0: 863D8107
	s_mul_i32 s61, s61, 0x80                                   // 000000008CE4: 923DFF3D 00000080
	s_add_u32 s60, s61, s60                                    // 000000008CEC: 803C3C3D
	v_add_u32_e64 v44, v44, s60                                // 000000008CF0: D134002C 0000792C
	ds_write_b32 v44, v144 offset:20992                        // 000000008CF8: D81A5200 0000902C
	ds_write_b32 v44, v145 offset:27136                        // 000000008D00: D81A6A00 0000912C
	ds_write_b32 v44, v146 offset:22016                        // 000000008D08: D81A5600 0000922C
	ds_write_b32 v44, v147 offset:28160                        // 000000008D10: D81A6E00 0000932C
	ds_write_b32 v44, v148 offset:23040                        // 000000008D18: D81A5A00 0000942C
	ds_write_b32 v44, v149 offset:29184                        // 000000008D20: D81A7200 0000952C
	ds_write_b32 v44, v150 offset:24064                        // 000000008D28: D81A5E00 0000962C
	ds_write_b32 v44, v151 offset:30208                        // 000000008D30: D81A7600 0000972C
	ds_write_b32 v44, v152 offset:25088                        // 000000008D38: D81A6200 0000982C
	ds_write_b32 v44, v153 offset:31232                        // 000000008D40: D81A7A00 0000992C
	ds_write_b32 v44, v154 offset:26112                        // 000000008D48: D81A6600 00009A2C
	ds_write_b32 v44, v155 offset:32256                        // 000000008D50: D81A7E00 00009B2C
	s_waitcnt lgkmcnt(0)                                       // 000000008D58: BF8CC07F
	s_barrier                                                  // 000000008D5C: BF8A0000
	v_and_b32_e32 v44, 31, v0                                  // 000000008D60: 2658009F
	v_lshrrev_b32_e32 v44, 4, v44                              // 000000008D64: 20585884
	v_lshlrev_b32_e32 v45, 5, v44                              // 000000008D68: 245A5885
	v_lshrrev_b32_e32 v44, 5, v0                               // 000000008D6C: 20580085
	v_lshlrev_b32_e32 v44, 7, v44                              // 000000008D70: 24585887
	v_add_u32_e32 v45, v44, v45                                // 000000008D74: 685A5B2C
	v_and_b32_e32 v44, 15, v0                                  // 000000008D78: 2658008F
	v_lshlrev_b32_e32 v44, 1, v44                              // 000000008D7C: 24585881
	v_add_u32_e32 v45, v44, v45                                // 000000008D80: 685A5B2C
	v_lshlrev_b32_e32 v44, 2, v45                              // 000000008D84: 24585A82
	ds_read_b64 v[144:145], v44 offset:20992                   // 000000008D88: D8EC5200 9000002C
	ds_read_b64 v[146:147], v44 offset:21248                   // 000000008D90: D8EC5300 9200002C
	ds_read_b64 v[148:149], v44 offset:22016                   // 000000008D98: D8EC5600 9400002C
	ds_read_b64 v[150:151], v44 offset:22272                   // 000000008DA0: D8EC5700 9600002C
	ds_read_b64 v[152:153], v44 offset:23040                   // 000000008DA8: D8EC5A00 9800002C
	ds_read_b64 v[154:155], v44 offset:23296                   // 000000008DB0: D8EC5B00 9A00002C
	ds_read_b64 v[156:157], v44 offset:24064                   // 000000008DB8: D8EC5E00 9C00002C
	ds_read_b64 v[158:159], v44 offset:24320                   // 000000008DC0: D8EC5F00 9E00002C
	ds_read_b64 v[160:161], v44 offset:25088                   // 000000008DC8: D8EC6200 A000002C
	ds_read_b64 v[162:163], v44 offset:25344                   // 000000008DD0: D8EC6300 A200002C
	ds_read_b64 v[164:165], v44 offset:26112                   // 000000008DD8: D8EC6600 A400002C
	ds_read_b64 v[166:167], v44 offset:26368                   // 000000008DE0: D8EC6700 A600002C
	ds_read_b64 v[168:169], v44 offset:27136                   // 000000008DE8: D8EC6A00 A800002C
	ds_read_b64 v[170:171], v44 offset:27392                   // 000000008DF0: D8EC6B00 AA00002C
	ds_read_b64 v[172:173], v44 offset:28160                   // 000000008DF8: D8EC6E00 AC00002C
	ds_read_b64 v[174:175], v44 offset:28416                   // 000000008E00: D8EC6F00 AE00002C
	ds_read_b64 v[176:177], v44 offset:29184                   // 000000008E08: D8EC7200 B000002C
	ds_read_b64 v[178:179], v44 offset:29440                   // 000000008E10: D8EC7300 B200002C
	ds_read_b64 v[180:181], v44 offset:30208                   // 000000008E18: D8EC7600 B400002C
	ds_read_b64 v[182:183], v44 offset:30464                   // 000000008E20: D8EC7700 B600002C
	ds_read_b64 v[184:185], v44 offset:31232                   // 000000008E28: D8EC7A00 B800002C
	ds_read_b64 v[186:187], v44 offset:31488                   // 000000008E30: D8EC7B00 BA00002C
	ds_read_b64 v[188:189], v44 offset:32256                   // 000000008E38: D8EC7E00 BC00002C
	ds_read_b64 v[190:191], v44 offset:32512                   // 000000008E40: D8EC7F00 BE00002C
	s_add_u32 s12, s56, s12                                    // 000000008E48: 800C0C38
	s_addc_u32 s13, 0, s13                                     // 000000008E4C: 820D0D80
	s_add_u32 s16, s79, s16                                    // 000000008E50: 8010104F
	s_addc_u32 s17, 0, s17                                     // 000000008E54: 82111180
	s_waitcnt lgkmcnt(0)                                       // 000000008E58: BF8CC07F
	s_barrier                                                  // 000000008E5C: BF8A0000
	v_mov_b32_e32 v192, 0                                      // 000000008E60: 7F800280
	v_mov_b32_e32 v224, 0                                      // 000000008E64: 7FC00280
	v_mov_b32_e32 v193, 0                                      // 000000008E68: 7F820280
	v_mov_b32_e32 v225, 0                                      // 000000008E6C: 7FC20280
	v_mov_b32_e32 v194, 0                                      // 000000008E70: 7F840280
	v_mov_b32_e32 v226, 0                                      // 000000008E74: 7FC40280
	v_mov_b32_e32 v195, 0                                      // 000000008E78: 7F860280
	v_mov_b32_e32 v227, 0                                      // 000000008E7C: 7FC60280
	v_mov_b32_e32 v196, 0                                      // 000000008E80: 7F880280
	v_mov_b32_e32 v228, 0                                      // 000000008E84: 7FC80280
	v_mov_b32_e32 v197, 0                                      // 000000008E88: 7F8A0280
	v_mov_b32_e32 v229, 0                                      // 000000008E8C: 7FCA0280
	v_mov_b32_e32 v198, 0                                      // 000000008E90: 7F8C0280
	v_mov_b32_e32 v230, 0                                      // 000000008E94: 7FCC0280
	v_mov_b32_e32 v199, 0                                      // 000000008E98: 7F8E0280
	v_mov_b32_e32 v231, 0                                      // 000000008E9C: 7FCE0280
	v_mov_b32_e32 v200, 0                                      // 000000008EA0: 7F900280
	v_mov_b32_e32 v232, 0                                      // 000000008EA4: 7FD00280
	v_mov_b32_e32 v201, 0                                      // 000000008EA8: 7F920280
	v_mov_b32_e32 v233, 0                                      // 000000008EAC: 7FD20280
	v_mov_b32_e32 v202, 0                                      // 000000008EB0: 7F940280
	v_mov_b32_e32 v234, 0                                      // 000000008EB4: 7FD40280
	v_mov_b32_e32 v203, 0                                      // 000000008EB8: 7F960280
	v_mov_b32_e32 v235, 0                                      // 000000008EBC: 7FD60280
	v_mov_b32_e32 v204, 0                                      // 000000008EC0: 7F980280
	v_mov_b32_e32 v236, 0                                      // 000000008EC4: 7FD80280
	v_mov_b32_e32 v205, 0                                      // 000000008EC8: 7F9A0280
	v_mov_b32_e32 v237, 0                                      // 000000008ECC: 7FDA0280
	v_mov_b32_e32 v206, 0                                      // 000000008ED0: 7F9C0280
	v_mov_b32_e32 v238, 0                                      // 000000008ED4: 7FDC0280
	v_mov_b32_e32 v207, 0                                      // 000000008ED8: 7F9E0280
	v_mov_b32_e32 v239, 0                                      // 000000008EDC: 7FDE0280
	ds_write_b64 v3, v[192:193] offset:20992                   // 000000008EE0: D89A5200 0000C003
	ds_write_b64 v3, v[194:195] offset:29696                   // 000000008EE8: D89A7400 0000C203
	ds_write_b64 v3, v[196:197] offset:23168                   // 000000008EF0: D89A5A80 0000C403
	ds_write_b64 v3, v[198:199] offset:31872                   // 000000008EF8: D89A7C80 0000C603
	ds_write_b64 v3, v[200:201] offset:25344                   // 000000008F00: D89A6300 0000C803
	ds_write_b64 v3, v[202:203] offset:34048                   // 000000008F08: D89A8500 0000CA03
	ds_write_b64 v3, v[204:205] offset:27520                   // 000000008F10: D89A6B80 0000CC03
	ds_write_b64 v3, v[206:207] offset:36224                   // 000000008F18: D89A8D80 0000CE03
	s_mov_b32 s80, 0                                           // 000000008F20: BED00080
	s_waitcnt vmcnt(0) expcnt(0) lgkmcnt(0)                    // 000000008F24: BF8C0000

0000000000008f28 <label_184A>:
	v_mov_b32_e32 v141, 0xffff0000                             // 000000008F28: 7F1A02FF FFFF0000
	v_mov_b32_e32 v142, 0x7fff0000                             // 000000008F30: 7F1C02FF 7FFF0000
	v_mov_b32_e32 v143, 0x7fff                                 // 000000008F38: 7F1E02FF 00007FFF
	s_waitcnt vmcnt(20) lgkmcnt(0)                             // 000000008F40: BF8C4074
	s_barrier                                                  // 000000008F44: BF8A0000
	v_mfma_f32_16x16x128_f8f6f4 v[192:195], a[0:7], v[144:151], 0// 000000008F48: D3AD00C0 0A032100
	buffer_load_dwordx4 a[96:99], v40, s[12:15], 0 offen       // 000000008F50: E05C1000 80836028
	buffer_load_dwordx4 a[100:103], v40, s[12:15], 0 offen offset:1024// 000000008F58: E05C1400 80836428
	v_mfma_f32_16x16x128_f8f6f4 v[196:199], a[0:7], v[168:175], 0// 000000008F60: D3AD00C4 0A035100
	ds_read_b32 v48, v4 offset:20992                           // 000000008F68: D86C5200 30000004
	ds_read_b32 v49, v4 offset:25344                           // 000000008F70: D86C6300 31000004
	ds_read_b32 v50, v4 offset:21000                           // 000000008F78: D86C5208 32000004
	ds_read_b32 v51, v4 offset:25352                           // 000000008F80: D86C6308 33000004
	v_mfma_f32_16x16x128_f8f6f4 v[200:203], a[8:15], v[144:151], 0// 000000008F88: D3AD00C8 0A032108
	buffer_load_dwordx4 a[104:107], v41, s[12:15], 0 offen     // 000000008F90: E05C1000 80836829
	buffer_load_dwordx4 a[108:111], v41, s[12:15], 0 offen offset:1024// 000000008F98: E05C1400 80836C29
	buffer_load_dword v23, v5, s[16:19], 0 offen               // 000000008FA0: E0501000 80041705
	v_mfma_f32_16x16x128_f8f6f4 v[204:207], a[8:15], v[168:175], 0// 000000008FA8: D3AD00CC 0A035108
	ds_read_b32 v52, v4 offset:21024                           // 000000008FB0: D86C5220 34000004
	ds_read_b32 v53, v4 offset:25376                           // 000000008FB8: D86C6320 35000004
	ds_read_b32 v54, v4 offset:21032                           // 000000008FC0: D86C5228 36000004
	ds_read_b32 v55, v4 offset:25384                           // 000000008FC8: D86C6328 37000004
	s_waitcnt vmcnt(21)                                        // 000000008FD0: BF8C4F75
	v_mfma_f32_16x16x128_f8f6f4 v[208:211], a[16:23], v[144:151], 0// 000000008FD4: D3AD00D0 0A032110
	buffer_load_dwordx4 a[112:115], v42, s[12:15], 0 offen     // 000000008FDC: E05C1000 8083702A
	buffer_load_dwordx4 a[116:119], v42, s[12:15], 0 offen offset:1024// 000000008FE4: E05C1400 8083742A
	v_mfma_f32_16x16x128_f8f6f4 v[212:215], a[16:23], v[168:175], 0// 000000008FEC: D3AD00D4 0A035110
	ds_read_b32 v56, v4 offset:29696                           // 000000008FF4: D86C7400 38000004
	ds_read_b32 v57, v4 offset:34048                           // 000000008FFC: D86C8500 39000004
	ds_read_b32 v58, v4 offset:29704                           // 000000009004: D86C7408 3A000004
	ds_read_b32 v59, v4 offset:34056                           // 00000000900C: D86C8508 3B000004
	v_mfma_f32_16x16x128_f8f6f4 v[216:219], a[24:31], v[144:151], 0// 000000009014: D3AD00D8 0A032118
	buffer_load_dwordx4 a[120:123], v43, s[12:15], 0 offen     // 00000000901C: E05C1000 8083782B
	buffer_load_dwordx4 a[124:127], v43, s[12:15], 0 offen offset:1024// 000000009024: E05C1400 80837C2B
	s_add_u32 s12, s78, s12                                    // 00000000902C: 800C0C4E
	s_addc_u32 s13, 0, s13                                     // 000000009030: 820D0D80
	v_mfma_f32_16x16x128_f8f6f4 v[220:223], a[24:31], v[168:175], 0// 000000009034: D3AD00DC 0A035118
	ds_read_b32 v60, v4 offset:29728                           // 00000000903C: D86C7420 3C000004
	ds_read_b32 v61, v4 offset:34080                           // 000000009044: D86C8520 3D000004
	ds_read_b32 v62, v4 offset:29736                           // 00000000904C: D86C7428 3E000004
	ds_read_b32 v63, v4 offset:34088                           // 000000009054: D86C8528 3F000004
	v_mul_f32_dpp v44, v22, v134 row_newbcast:0 row_mask:0xf bank_mask:0xf// 00000000905C: 0A590CFA FF015016
	v_mov_b32_e32 v45, v44                                     // 000000009064: 7E5A032C
	v_pk_mul_f32 v[192:193], v[44:45], v[192:193]              // 000000009068: D3B140C0 1803812C
	v_pk_mul_f32 v[194:195], v[44:45], v[194:195]              // 000000009070: D3B140C2 1803852C
	v_pk_mul_f32 v[200:201], v[44:45], v[200:201]              // 000000009078: D3B140C8 1803912C
	v_pk_mul_f32 v[202:203], v[44:45], v[202:203]              // 000000009080: D3B140CA 1803952C
	v_mul_f32_dpp v44, v22, v134 row_newbcast:1 row_mask:0xf bank_mask:0xf// 000000009088: 0A590CFA FF015116
	v_mov_b32_e32 v45, v44                                     // 000000009090: 7E5A032C
	v_pk_mul_f32 v[208:209], v[44:45], v[208:209]              // 000000009094: D3B140D0 1803A12C
	v_pk_mul_f32 v[210:211], v[44:45], v[210:211]              // 00000000909C: D3B140D2 1803A52C
	v_pk_mul_f32 v[216:217], v[44:45], v[216:217]              // 0000000090A4: D3B140D8 1803B12C
	v_pk_mul_f32 v[218:219], v[44:45], v[218:219]              // 0000000090AC: D3B140DA 1803B52C
	v_mul_f32_dpp v44, v22, v135 row_newbcast:0 row_mask:0xf bank_mask:0xf// 0000000090B4: 0A590EFA FF015016
	v_mov_b32_e32 v45, v44                                     // 0000000090BC: 7E5A032C
	v_pk_mul_f32 v[196:197], v[44:45], v[196:197]              // 0000000090C0: D3B140C4 1803892C
	v_pk_mul_f32 v[198:199], v[44:45], v[198:199]              // 0000000090C8: D3B140C6 18038D2C
	v_pk_mul_f32 v[204:205], v[44:45], v[204:205]              // 0000000090D0: D3B140CC 1803992C
	v_pk_mul_f32 v[206:207], v[44:45], v[206:207]              // 0000000090D8: D3B140CE 18039D2C
	v_mul_f32_dpp v44, v22, v135 row_newbcast:1 row_mask:0xf bank_mask:0xf// 0000000090E0: 0A590EFA FF015116
	v_mov_b32_e32 v45, v44                                     // 0000000090E8: 7E5A032C
	v_pk_mul_f32 v[212:213], v[44:45], v[212:213]              // 0000000090EC: D3B140D4 1803A92C
	v_pk_mul_f32 v[214:215], v[44:45], v[214:215]              // 0000000090F4: D3B140D6 1803AD2C
	v_pk_mul_f32 v[220:221], v[44:45], v[220:221]              // 0000000090FC: D3B140DC 1803B92C
	v_pk_mul_f32 v[222:223], v[44:45], v[222:223]              // 000000009104: D3B140DE 1803BD2C
	s_waitcnt vmcnt(21)                                        // 00000000910C: BF8C4F75
	v_mfma_f32_16x16x128_f8f6f4 v[96:99], a[32:39], v[152:159], 0// 000000009110: D3AD0060 0A033120
	buffer_load_dwordx4 a[128:131], v40, s[12:15], 0 offen     // 000000009118: E05C1000 80838028
	buffer_load_dwordx4 a[132:135], v40, s[12:15], 0 offen offset:1024// 000000009120: E05C1400 80838428
	v_mfma_f32_16x16x128_f8f6f4 v[100:103], a[32:39], v[176:183], 0// 000000009128: D3AD0064 0A036120
	ds_write_b64 v3, v[224:225] offset:38400                   // 000000009130: D89A9600 0000E003
	ds_write_b64 v3, v[226:227] offset:47104                   // 000000009138: D89AB800 0000E203
	v_mfma_f32_16x16x128_f8f6f4 v[104:107], a[40:47], v[152:159], 0// 000000009140: D3AD0068 0A033128
	buffer_load_dwordx4 a[136:139], v41, s[12:15], 0 offen     // 000000009148: E05C1000 80838829
	buffer_load_dwordx4 a[140:143], v41, s[12:15], 0 offen offset:1024// 000000009150: E05C1400 80838C29
	v_mfma_f32_16x16x128_f8f6f4 v[108:111], a[40:47], v[176:183], 0// 000000009158: D3AD006C 0A036128
	ds_write_b64 v3, v[228:229] offset:40576                   // 000000009160: D89A9E80 0000E403
	ds_write_b64 v3, v[230:231] offset:49280                   // 000000009168: D89AC080 0000E603
	s_waitcnt vmcnt(21)                                        // 000000009170: BF8C4F75
	v_mfma_f32_16x16x128_f8f6f4 v[112:115], a[48:55], v[152:159], 0// 000000009174: D3AD0070 0A033130
	buffer_load_dwordx4 a[144:147], v42, s[12:15], 0 offen     // 00000000917C: E05C1000 8083902A
	buffer_load_dwordx4 a[148:151], v42, s[12:15], 0 offen offset:1024// 000000009184: E05C1400 8083942A
	v_mfma_f32_16x16x128_f8f6f4 v[116:119], a[48:55], v[176:183], 0// 00000000918C: D3AD0074 0A036130
	ds_write_b64 v3, v[232:233] offset:42752                   // 000000009194: D89AA700 0000E803
	ds_write_b64 v3, v[234:235] offset:51456                   // 00000000919C: D89AC900 0000EA03
	v_mfma_f32_16x16x128_f8f6f4 v[120:123], a[56:63], v[152:159], 0// 0000000091A4: D3AD0078 0A033138
	buffer_load_dwordx4 a[152:155], v43, s[12:15], 0 offen     // 0000000091AC: E05C1000 8083982B
	buffer_load_dwordx4 a[156:159], v43, s[12:15], 0 offen offset:1024// 0000000091B4: E05C1400 80839C2B
	s_add_u32 s12, s78, s12                                    // 0000000091BC: 800C0C4E
	s_addc_u32 s13, 0, s13                                     // 0000000091C0: 820D0D80
	v_mfma_f32_16x16x128_f8f6f4 v[124:127], a[56:63], v[176:183], 0// 0000000091C4: D3AD007C 0A036138
	ds_write_b64 v3, v[236:237] offset:44928                   // 0000000091CC: D89AAF80 0000EC03
	ds_write_b64 v3, v[238:239] offset:53632                   // 0000000091D4: D89AD180 0000EE03
	v_mul_f32_dpp v44, v22, v136 row_newbcast:2 row_mask:0xf bank_mask:0xf// 0000000091DC: 0A5910FA FF015216
	v_mov_b32_e32 v45, v44                                     // 0000000091E4: 7E5A032C
	v_pk_fma_f32 v[192:193], v[96:97], v[44:45], v[192:193]    // 0000000091E8: D3B040C0 1F025960
	v_pk_fma_f32 v[194:195], v[98:99], v[44:45], v[194:195]    // 0000000091F0: D3B040C2 1F0A5962
	v_pk_fma_f32 v[200:201], v[104:105], v[44:45], v[200:201]  // 0000000091F8: D3B040C8 1F225968
	v_pk_fma_f32 v[202:203], v[106:107], v[44:45], v[202:203]  // 000000009200: D3B040CA 1F2A596A
	v_mul_f32_dpp v44, v22, v136 row_newbcast:3 row_mask:0xf bank_mask:0xf// 000000009208: 0A5910FA FF015316
	v_mov_b32_e32 v45, v44                                     // 000000009210: 7E5A032C
	v_pk_fma_f32 v[208:209], v[112:113], v[44:45], v[208:209]  // 000000009214: D3B040D0 1F425970
	v_pk_fma_f32 v[210:211], v[114:115], v[44:45], v[210:211]  // 00000000921C: D3B040D2 1F4A5972
	v_pk_fma_f32 v[216:217], v[120:121], v[44:45], v[216:217]  // 000000009224: D3B040D8 1F625978
	v_pk_fma_f32 v[218:219], v[122:123], v[44:45], v[218:219]  // 00000000922C: D3B040DA 1F6A597A
	v_mul_f32_dpp v44, v22, v137 row_newbcast:2 row_mask:0xf bank_mask:0xf// 000000009234: 0A5912FA FF015216
	v_mov_b32_e32 v45, v44                                     // 00000000923C: 7E5A032C
	v_pk_fma_f32 v[196:197], v[100:101], v[44:45], v[196:197]  // 000000009240: D3B040C4 1F125964
	v_pk_fma_f32 v[198:199], v[102:103], v[44:45], v[198:199]  // 000000009248: D3B040C6 1F1A5966
	v_pk_fma_f32 v[204:205], v[108:109], v[44:45], v[204:205]  // 000000009250: D3B040CC 1F32596C
	v_pk_fma_f32 v[206:207], v[110:111], v[44:45], v[206:207]  // 000000009258: D3B040CE 1F3A596E
	v_mul_f32_dpp v44, v22, v137 row_newbcast:3 row_mask:0xf bank_mask:0xf// 000000009260: 0A5912FA FF015316
	v_mov_b32_e32 v45, v44                                     // 000000009268: 7E5A032C
	v_pk_fma_f32 v[212:213], v[116:117], v[44:45], v[212:213]  // 00000000926C: D3B040D4 1F525974
	v_pk_fma_f32 v[214:215], v[118:119], v[44:45], v[214:215]  // 000000009274: D3B040D6 1F5A5976
	v_pk_fma_f32 v[220:221], v[124:125], v[44:45], v[220:221]  // 00000000927C: D3B040DC 1F72597C
	v_pk_fma_f32 v[222:223], v[126:127], v[44:45], v[222:223]  // 000000009284: D3B040DE 1F7A597E
	s_waitcnt vmcnt(21)                                        // 00000000928C: BF8C4F75
	v_mfma_f32_16x16x128_f8f6f4 v[96:99], a[64:71], v[160:167], 0// 000000009290: D3AD0060 0A034140
	buffer_load_dwordx4 a[160:163], v40, s[12:15], 0 offen     // 000000009298: E05C1000 8083A028
	buffer_load_dwordx4 a[164:167], v40, s[12:15], 0 offen offset:1024// 0000000092A0: E05C1400 8083A428
	v_mfma_f32_16x16x128_f8f6f4 v[100:103], a[64:71], v[184:191], 0// 0000000092A8: D3AD0064 0A037140
	v_mfma_f32_16x16x128_f8f6f4 v[104:107], a[72:79], v[160:167], 0// 0000000092B0: D3AD0068 0A034148
	buffer_load_dwordx4 a[168:171], v41, s[12:15], 0 offen     // 0000000092B8: E05C1000 8083A829
	buffer_load_dwordx4 a[172:175], v41, s[12:15], 0 offen offset:1024// 0000000092C0: E05C1400 8083AC29
	v_mfma_f32_16x16x128_f8f6f4 v[108:111], a[72:79], v[184:191], 0// 0000000092C8: D3AD006C 0A037148
	s_waitcnt vmcnt(21)                                        // 0000000092D0: BF8C4F75
	v_mfma_f32_16x16x128_f8f6f4 v[112:115], a[80:87], v[160:167], 0// 0000000092D4: D3AD0070 0A034150
	buffer_load_dwordx4 a[176:179], v42, s[12:15], 0 offen     // 0000000092DC: E05C1000 8083B02A
	buffer_load_dwordx4 a[180:183], v42, s[12:15], 0 offen offset:1024// 0000000092E4: E05C1400 8083B42A
	v_mfma_f32_16x16x128_f8f6f4 v[116:119], a[80:87], v[184:191], 0// 0000000092EC: D3AD0074 0A037150
	v_mfma_f32_16x16x128_f8f6f4 v[120:123], a[88:95], v[160:167], 0// 0000000092F4: D3AD0078 0A034158
	buffer_load_dwordx4 a[184:187], v43, s[12:15], 0 offen     // 0000000092FC: E05C1000 8083B82B
	buffer_load_dwordx4 a[188:191], v43, s[12:15], 0 offen offset:1024// 000000009304: E05C1400 8083BC2B
	v_mfma_f32_16x16x128_f8f6f4 v[124:127], a[88:95], v[184:191], 0// 00000000930C: D3AD007C 0A037158
	v_mul_f32_dpp v44, v22, v138 row_newbcast:4 row_mask:0xf bank_mask:0xf// 000000009314: 0A5914FA FF015416
	v_mov_b32_e32 v45, v44                                     // 00000000931C: 7E5A032C
	v_pk_fma_f32 v[192:193], v[96:97], v[44:45], v[192:193]    // 000000009320: D3B040C0 1F025960
	v_pk_fma_f32 v[194:195], v[98:99], v[44:45], v[194:195]    // 000000009328: D3B040C2 1F0A5962
	v_pk_fma_f32 v[200:201], v[104:105], v[44:45], v[200:201]  // 000000009330: D3B040C8 1F225968
	v_pk_fma_f32 v[202:203], v[106:107], v[44:45], v[202:203]  // 000000009338: D3B040CA 1F2A596A
	v_mul_f32_dpp v44, v22, v138 row_newbcast:5 row_mask:0xf bank_mask:0xf// 000000009340: 0A5914FA FF015516
	v_mov_b32_e32 v45, v44                                     // 000000009348: 7E5A032C
	v_pk_fma_f32 v[208:209], v[112:113], v[44:45], v[208:209]  // 00000000934C: D3B040D0 1F425970
	v_pk_fma_f32 v[210:211], v[114:115], v[44:45], v[210:211]  // 000000009354: D3B040D2 1F4A5972
	v_pk_fma_f32 v[216:217], v[120:121], v[44:45], v[216:217]  // 00000000935C: D3B040D8 1F625978
	v_pk_fma_f32 v[218:219], v[122:123], v[44:45], v[218:219]  // 000000009364: D3B040DA 1F6A597A
	v_mul_f32_dpp v44, v22, v139 row_newbcast:4 row_mask:0xf bank_mask:0xf// 00000000936C: 0A5916FA FF015416
	v_mov_b32_e32 v45, v44                                     // 000000009374: 7E5A032C
	v_pk_fma_f32 v[196:197], v[100:101], v[44:45], v[196:197]  // 000000009378: D3B040C4 1F125964
	v_pk_fma_f32 v[198:199], v[102:103], v[44:45], v[198:199]  // 000000009380: D3B040C6 1F1A5966
	v_pk_fma_f32 v[204:205], v[108:109], v[44:45], v[204:205]  // 000000009388: D3B040CC 1F32596C
	v_pk_fma_f32 v[206:207], v[110:111], v[44:45], v[206:207]  // 000000009390: D3B040CE 1F3A596E
	v_mul_f32_dpp v44, v22, v139 row_newbcast:5 row_mask:0xf bank_mask:0xf// 000000009398: 0A5916FA FF015516
	v_mov_b32_e32 v45, v44                                     // 0000000093A0: 7E5A032C
	v_pk_fma_f32 v[212:213], v[116:117], v[44:45], v[212:213]  // 0000000093A4: D3B040D4 1F525974
	v_pk_fma_f32 v[214:215], v[118:119], v[44:45], v[214:215]  // 0000000093AC: D3B040D6 1F5A5976
	v_pk_fma_f32 v[220:221], v[124:125], v[44:45], v[220:221]  // 0000000093B4: D3B040DC 1F72597C
	v_pk_fma_f32 v[222:223], v[126:127], v[44:45], v[222:223]  // 0000000093BC: D3B040DE 1F7A597E
	s_add_u32 s60, 0x200, s80                                  // 0000000093C4: 803C50FF 00000200
	s_cmp_lt_u32 s60, s81                                      // 0000000093CC: BF0A513C
	s_cselect_b32 s56, s56, 0                                  // 0000000093D0: 85388038
	s_cselect_b32 s78, s78, 0                                  // 0000000093D4: 854E804E
	s_cselect_b32 s79, s79, 0                                  // 0000000093D8: 854F804F
	s_add_u32 s12, s56, s12                                    // 0000000093DC: 800C0C38
	s_addc_u32 s13, 0, s13                                     // 0000000093E0: 820D0D80
	s_add_u32 s16, s79, s16                                    // 0000000093E4: 8010104F
	s_addc_u32 s17, 0, s17                                     // 0000000093E8: 82111180
	v_mov_b32_e32 v44, v24                                     // 0000000093EC: 7E580318
	v_mov_b32_e32 v45, v24                                     // 0000000093F0: 7E5A0318
	v_pk_mul_f32 v[192:193], v[44:45], v[192:193]              // 0000000093F4: D3B140C0 1803812C
	v_pk_mul_f32 v[194:195], v[44:45], v[194:195]              // 0000000093FC: D3B140C2 1803852C
	v_pk_mul_f32 v[200:201], v[44:45], v[200:201]              // 000000009404: D3B140C8 1803912C
	v_pk_mul_f32 v[202:203], v[44:45], v[202:203]              // 00000000940C: D3B140CA 1803952C
	v_pk_mul_f32 v[208:209], v[44:45], v[208:209]              // 000000009414: D3B140D0 1803A12C
	v_pk_mul_f32 v[210:211], v[44:45], v[210:211]              // 00000000941C: D3B140D2 1803A52C
	v_pk_mul_f32 v[216:217], v[44:45], v[216:217]              // 000000009424: D3B140D8 1803B12C
	v_pk_mul_f32 v[218:219], v[44:45], v[218:219]              // 00000000942C: D3B140DA 1803B52C
	v_mov_b32_e32 v44, v25                                     // 000000009434: 7E580319
	v_mov_b32_e32 v45, v25                                     // 000000009438: 7E5A0319
	v_pk_mul_f32 v[196:197], v[44:45], v[196:197]              // 00000000943C: D3B140C4 1803892C
	v_pk_mul_f32 v[198:199], v[44:45], v[198:199]              // 000000009444: D3B140C6 18038D2C
	v_pk_mul_f32 v[204:205], v[44:45], v[204:205]              // 00000000944C: D3B140CC 1803992C
	v_pk_mul_f32 v[206:207], v[44:45], v[206:207]              // 000000009454: D3B140CE 18039D2C
	v_pk_mul_f32 v[212:213], v[44:45], v[212:213]              // 00000000945C: D3B140D4 1803A92C
	v_pk_mul_f32 v[214:215], v[44:45], v[214:215]              // 000000009464: D3B140D6 1803AD2C
	v_pk_mul_f32 v[220:221], v[44:45], v[220:221]              // 00000000946C: D3B140DC 1803B92C
	v_pk_mul_f32 v[222:223], v[44:45], v[222:223]              // 000000009474: D3B140DE 1803BD2C
	v_cvt_pk_bf16_f32 v192, v192, v193                         // 00000000947C: D26800C0 000383C0
	v_cvt_pk_bf16_f32 v193, v194, v195                         // 000000009484: D26800C1 000387C2
	v_cvt_pk_bf16_f32 v194, v196, v197                         // 00000000948C: D26800C2 00038BC4
	v_cvt_pk_bf16_f32 v195, v198, v199                         // 000000009494: D26800C3 00038FC6
	v_cvt_pk_bf16_f32 v196, v200, v201                         // 00000000949C: D26800C4 000393C8
	v_cvt_pk_bf16_f32 v197, v202, v203                         // 0000000094A4: D26800C5 000397CA
	v_cvt_pk_bf16_f32 v198, v204, v205                         // 0000000094AC: D26800C6 00039BCC
	v_cvt_pk_bf16_f32 v199, v206, v207                         // 0000000094B4: D26800C7 00039FCE
	v_cvt_pk_bf16_f32 v200, v208, v209                         // 0000000094BC: D26800C8 0003A3D0
	v_cvt_pk_bf16_f32 v201, v210, v211                         // 0000000094C4: D26800C9 0003A7D2
	v_cvt_pk_bf16_f32 v202, v212, v213                         // 0000000094CC: D26800CA 0003ABD4
	v_cvt_pk_bf16_f32 v203, v214, v215                         // 0000000094D4: D26800CB 0003AFD6
	v_cvt_pk_bf16_f32 v204, v216, v217                         // 0000000094DC: D26800CC 0003B3D8
	v_cvt_pk_bf16_f32 v205, v218, v219                         // 0000000094E4: D26800CD 0003B7DA
	v_cvt_pk_bf16_f32 v206, v220, v221                         // 0000000094EC: D26800CE 0003BBDC
	v_cvt_pk_bf16_f32 v207, v222, v223                         // 0000000094F4: D26800CF 0003BFDE
	s_cmp_ge_u32 s80, 0x200                                    // 0000000094FC: BF09FF50 00000200
	s_cselect_b32 s59, 0x200, s59                              // 000000009504: 853B3BFF 00000200
	s_setvskip s20, 0                                          // 00000000950C: BF108014
	global_atomic_pk_add_bf16 v64, v48, s[8:9]                 // 000000009510: DD488000 00083040
	s_setvskip 0, 0                                            // 000000009518: BF108080
	s_setvskip s20, 0                                          // 00000000951C: BF108014
	global_atomic_pk_add_bf16 v64, v49, s[8:9] offset:256      // 000000009520: DD488100 00083140
	s_setvskip 0, 0                                            // 000000009528: BF108080
	s_setvskip s20, 1                                          // 00000000952C: BF108114
	global_atomic_pk_add_bf16 v66, v50, s[8:9]                 // 000000009530: DD488000 00083242
	s_setvskip 0, 0                                            // 000000009538: BF108080
	s_setvskip s20, 1                                          // 00000000953C: BF108114
	global_atomic_pk_add_bf16 v66, v51, s[8:9] offset:256      // 000000009540: DD488100 00083342
	s_setvskip 0, 0                                            // 000000009548: BF108080
	s_setvskip s20, 2                                          // 00000000954C: BF108214
	global_atomic_pk_add_bf16 v68, v52, s[8:9]                 // 000000009550: DD488000 00083444
	s_setvskip 0, 0                                            // 000000009558: BF108080
	s_setvskip s20, 2                                          // 00000000955C: BF108214
	global_atomic_pk_add_bf16 v68, v53, s[8:9] offset:256      // 000000009560: DD488100 00083544
	s_setvskip 0, 0                                            // 000000009568: BF108080
	s_setvskip s20, 3                                          // 00000000956C: BF108314
	global_atomic_pk_add_bf16 v70, v54, s[8:9]                 // 000000009570: DD488000 00083646
	s_setvskip 0, 0                                            // 000000009578: BF108080
	s_setvskip s20, 3                                          // 00000000957C: BF108314
	global_atomic_pk_add_bf16 v70, v55, s[8:9] offset:256      // 000000009580: DD488100 00083746
	s_setvskip 0, 0                                            // 000000009588: BF108080
	s_setvskip s20, 4                                          // 00000000958C: BF108414
	global_atomic_pk_add_bf16 v72, v56, s[8:9]                 // 000000009590: DD488000 00083848
	s_setvskip 0, 0                                            // 000000009598: BF108080
	s_setvskip s20, 4                                          // 00000000959C: BF108414
	global_atomic_pk_add_bf16 v72, v57, s[8:9] offset:256      // 0000000095A0: DD488100 00083948
	s_setvskip 0, 0                                            // 0000000095A8: BF108080
	s_setvskip s20, 5                                          // 0000000095AC: BF108514
	global_atomic_pk_add_bf16 v74, v58, s[8:9]                 // 0000000095B0: DD488000 00083A4A
	s_setvskip 0, 0                                            // 0000000095B8: BF108080
	s_setvskip s20, 5                                          // 0000000095BC: BF108514
	global_atomic_pk_add_bf16 v74, v59, s[8:9] offset:256      // 0000000095C0: DD488100 00083B4A
	s_setvskip 0, 0                                            // 0000000095C8: BF108080
	s_setvskip s20, 6                                          // 0000000095CC: BF108614
	global_atomic_pk_add_bf16 v76, v60, s[8:9]                 // 0000000095D0: DD488000 00083C4C
	s_setvskip 0, 0                                            // 0000000095D8: BF108080
	s_setvskip s20, 6                                          // 0000000095DC: BF108614
	global_atomic_pk_add_bf16 v76, v61, s[8:9] offset:256      // 0000000095E0: DD488100 00083D4C
	s_setvskip 0, 0                                            // 0000000095E8: BF108080
	s_setvskip s20, 7                                          // 0000000095EC: BF108714
	global_atomic_pk_add_bf16 v78, v62, s[8:9]                 // 0000000095F0: DD488000 00083E4E
	s_setvskip 0, 0                                            // 0000000095F8: BF108080
	s_setvskip s20, 7                                          // 0000000095FC: BF108714
	global_atomic_pk_add_bf16 v78, v63, s[8:9] offset:256      // 000000009600: DD488100 00083F4E
	s_setvskip 0, 0                                            // 000000009608: BF108080
	s_add_u32 s8, s59, s8                                      // 00000000960C: 8008083B
	s_addc_u32 s9, 0, s9                                       // 000000009610: 82090980
	s_addk_i32 s80, 0x100                                      // 000000009614: B7500100
	s_cmp_lt_i32 s80, s81                                      // 000000009618: BF045150
	s_cbranch_scc0 label_0F66                                  // 00000000961C: BF84F55E
	s_waitcnt vmcnt(20) lgkmcnt(0)                             // 000000009620: BF8C4074
	s_barrier                                                  // 000000009624: BF8A0000
	v_mfma_f32_16x16x128_f8f6f4 v[224:227], a[96:103], v[144:151], 0// 000000009628: D3AD00E0 0A032160
	buffer_load_dwordx4 a[0:3], v40, s[12:15], 0 offen         // 000000009630: E05C1000 80830028
	buffer_load_dwordx4 a[4:7], v40, s[12:15], 0 offen offset:1024// 000000009638: E05C1400 80830428
	v_mfma_f32_16x16x128_f8f6f4 v[228:231], a[96:103], v[168:175], 0// 000000009640: D3AD00E4 0A035160
	ds_read_b32 v48, v4 offset:38400                           // 000000009648: D86C9600 30000004
	ds_read_b32 v49, v4 offset:42752                           // 000000009650: D86CA700 31000004
	ds_read_b32 v50, v4 offset:38408                           // 000000009658: D86C9608 32000004
	ds_read_b32 v51, v4 offset:42760                           // 000000009660: D86CA708 33000004
	v_mfma_f32_16x16x128_f8f6f4 v[232:235], a[104:111], v[144:151], 0// 000000009668: D3AD00E8 0A032168
	buffer_load_dwordx4 a[8:11], v41, s[12:15], 0 offen        // 000000009670: E05C1000 80830829
	buffer_load_dwordx4 a[12:15], v41, s[12:15], 0 offen offset:1024// 000000009678: E05C1400 80830C29
	buffer_load_dword v22, v5, s[16:19], 0 offen               // 000000009680: E0501000 80041605
	v_mfma_f32_16x16x128_f8f6f4 v[236:239], a[104:111], v[168:175], 0// 000000009688: D3AD00EC 0A035168
	ds_read_b32 v52, v4 offset:38432                           // 000000009690: D86C9620 34000004
	ds_read_b32 v53, v4 offset:42784                           // 000000009698: D86CA720 35000004
	ds_read_b32 v54, v4 offset:38440                           // 0000000096A0: D86C9628 36000004
	ds_read_b32 v55, v4 offset:42792                           // 0000000096A8: D86CA728 37000004
	s_waitcnt vmcnt(21)                                        // 0000000096B0: BF8C4F75
	v_mfma_f32_16x16x128_f8f6f4 v[240:243], a[112:119], v[144:151], 0// 0000000096B4: D3AD00F0 0A032170
	buffer_load_dwordx4 a[16:19], v42, s[12:15], 0 offen       // 0000000096BC: E05C1000 8083102A
	buffer_load_dwordx4 a[20:23], v42, s[12:15], 0 offen offset:1024// 0000000096C4: E05C1400 8083142A
	v_mfma_f32_16x16x128_f8f6f4 v[244:247], a[112:119], v[168:175], 0// 0000000096CC: D3AD00F4 0A035170
	ds_read_b32 v56, v4 offset:47104                           // 0000000096D4: D86CB800 38000004
	ds_read_b32 v57, v4 offset:51456                           // 0000000096DC: D86CC900 39000004
	ds_read_b32 v58, v4 offset:47112                           // 0000000096E4: D86CB808 3A000004
	ds_read_b32 v59, v4 offset:51464                           // 0000000096EC: D86CC908 3B000004
	v_mfma_f32_16x16x128_f8f6f4 v[248:251], a[120:127], v[144:151], 0// 0000000096F4: D3AD00F8 0A032178
	buffer_load_dwordx4 a[24:27], v43, s[12:15], 0 offen       // 0000000096FC: E05C1000 8083182B
	buffer_load_dwordx4 a[28:31], v43, s[12:15], 0 offen offset:1024// 000000009704: E05C1400 80831C2B
	s_add_u32 s12, s78, s12                                    // 00000000970C: 800C0C4E
	s_addc_u32 s13, 0, s13                                     // 000000009710: 820D0D80
	v_mfma_f32_16x16x128_f8f6f4 v[252:255], a[120:127], v[168:175], 0// 000000009714: D3AD00FC 0A035178
	ds_read_b32 v60, v4 offset:47136                           // 00000000971C: D86CB820 3C000004
	ds_read_b32 v61, v4 offset:51488                           // 000000009724: D86CC920 3D000004
	ds_read_b32 v62, v4 offset:47144                           // 00000000972C: D86CB828 3E000004
	ds_read_b32 v63, v4 offset:51496                           // 000000009734: D86CC928 3F000004
	v_mul_f32_dpp v44, v23, v134 row_newbcast:0 row_mask:0xf bank_mask:0xf// 00000000973C: 0A590CFA FF015017
	v_mov_b32_e32 v45, v44                                     // 000000009744: 7E5A032C
	v_pk_mul_f32 v[224:225], v[44:45], v[224:225]              // 000000009748: D3B140E0 1803C12C
	v_pk_mul_f32 v[226:227], v[44:45], v[226:227]              // 000000009750: D3B140E2 1803C52C
	v_pk_mul_f32 v[232:233], v[44:45], v[232:233]              // 000000009758: D3B140E8 1803D12C
	v_pk_mul_f32 v[234:235], v[44:45], v[234:235]              // 000000009760: D3B140EA 1803D52C
	v_mul_f32_dpp v44, v23, v134 row_newbcast:1 row_mask:0xf bank_mask:0xf// 000000009768: 0A590CFA FF015117
	v_mov_b32_e32 v45, v44                                     // 000000009770: 7E5A032C
	v_pk_mul_f32 v[240:241], v[44:45], v[240:241]              // 000000009774: D3B140F0 1803E12C
	v_pk_mul_f32 v[242:243], v[44:45], v[242:243]              // 00000000977C: D3B140F2 1803E52C
	v_pk_mul_f32 v[248:249], v[44:45], v[248:249]              // 000000009784: D3B140F8 1803F12C
	v_pk_mul_f32 v[250:251], v[44:45], v[250:251]              // 00000000978C: D3B140FA 1803F52C
	v_mul_f32_dpp v44, v23, v135 row_newbcast:0 row_mask:0xf bank_mask:0xf// 000000009794: 0A590EFA FF015017
	v_mov_b32_e32 v45, v44                                     // 00000000979C: 7E5A032C
	v_pk_mul_f32 v[228:229], v[44:45], v[228:229]              // 0000000097A0: D3B140E4 1803C92C
	v_pk_mul_f32 v[230:231], v[44:45], v[230:231]              // 0000000097A8: D3B140E6 1803CD2C
	v_pk_mul_f32 v[236:237], v[44:45], v[236:237]              // 0000000097B0: D3B140EC 1803D92C
	v_pk_mul_f32 v[238:239], v[44:45], v[238:239]              // 0000000097B8: D3B140EE 1803DD2C
	v_mul_f32_dpp v44, v23, v135 row_newbcast:1 row_mask:0xf bank_mask:0xf// 0000000097C0: 0A590EFA FF015117
	v_mov_b32_e32 v45, v44                                     // 0000000097C8: 7E5A032C
	v_pk_mul_f32 v[244:245], v[44:45], v[244:245]              // 0000000097CC: D3B140F4 1803E92C
	v_pk_mul_f32 v[246:247], v[44:45], v[246:247]              // 0000000097D4: D3B140F6 1803ED2C
	v_pk_mul_f32 v[252:253], v[44:45], v[252:253]              // 0000000097DC: D3B140FC 1803F92C
	v_pk_mul_f32 v[254:255], v[44:45], v[254:255]              // 0000000097E4: D3B140FE 1803FD2C
	s_waitcnt vmcnt(21)                                        // 0000000097EC: BF8C4F75
	v_mfma_f32_16x16x128_f8f6f4 v[96:99], a[128:135], v[152:159], 0// 0000000097F0: D3AD0060 0A033180
	buffer_load_dwordx4 a[32:35], v40, s[12:15], 0 offen       // 0000000097F8: E05C1000 80832028
	buffer_load_dwordx4 a[36:39], v40, s[12:15], 0 offen offset:1024// 000000009800: E05C1400 80832428
	v_mfma_f32_16x16x128_f8f6f4 v[100:103], a[128:135], v[176:183], 0// 000000009808: D3AD0064 0A036180
	ds_write_b64 v3, v[192:193] offset:20992                   // 000000009810: D89A5200 0000C003
	ds_write_b64 v3, v[194:195] offset:29696                   // 000000009818: D89A7400 0000C203
	v_mfma_f32_16x16x128_f8f6f4 v[104:107], a[136:143], v[152:159], 0// 000000009820: D3AD0068 0A033188
	buffer_load_dwordx4 a[40:43], v41, s[12:15], 0 offen       // 000000009828: E05C1000 80832829
	buffer_load_dwordx4 a[44:47], v41, s[12:15], 0 offen offset:1024// 000000009830: E05C1400 80832C29
	v_mfma_f32_16x16x128_f8f6f4 v[108:111], a[136:143], v[176:183], 0// 000000009838: D3AD006C 0A036188
	ds_write_b64 v3, v[196:197] offset:23168                   // 000000009840: D89A5A80 0000C403
	ds_write_b64 v3, v[198:199] offset:31872                   // 000000009848: D89A7C80 0000C603
	s_waitcnt vmcnt(21)                                        // 000000009850: BF8C4F75
	v_mfma_f32_16x16x128_f8f6f4 v[112:115], a[144:151], v[152:159], 0// 000000009854: D3AD0070 0A033190
	buffer_load_dwordx4 a[48:51], v42, s[12:15], 0 offen       // 00000000985C: E05C1000 8083302A
	buffer_load_dwordx4 a[52:55], v42, s[12:15], 0 offen offset:1024// 000000009864: E05C1400 8083342A
	v_mfma_f32_16x16x128_f8f6f4 v[116:119], a[144:151], v[176:183], 0// 00000000986C: D3AD0074 0A036190
	ds_write_b64 v3, v[200:201] offset:25344                   // 000000009874: D89A6300 0000C803
	ds_write_b64 v3, v[202:203] offset:34048                   // 00000000987C: D89A8500 0000CA03
	v_mfma_f32_16x16x128_f8f6f4 v[120:123], a[152:159], v[152:159], 0// 000000009884: D3AD0078 0A033198
	buffer_load_dwordx4 a[56:59], v43, s[12:15], 0 offen       // 00000000988C: E05C1000 8083382B
	buffer_load_dwordx4 a[60:63], v43, s[12:15], 0 offen offset:1024// 000000009894: E05C1400 80833C2B
	s_add_u32 s12, s78, s12                                    // 00000000989C: 800C0C4E
	s_addc_u32 s13, 0, s13                                     // 0000000098A0: 820D0D80
	v_mfma_f32_16x16x128_f8f6f4 v[124:127], a[152:159], v[176:183], 0// 0000000098A4: D3AD007C 0A036198
	ds_write_b64 v3, v[204:205] offset:27520                   // 0000000098AC: D89A6B80 0000CC03
	ds_write_b64 v3, v[206:207] offset:36224                   // 0000000098B4: D89A8D80 0000CE03
	v_mul_f32_dpp v44, v23, v136 row_newbcast:2 row_mask:0xf bank_mask:0xf// 0000000098BC: 0A5910FA FF015217
	v_mov_b32_e32 v45, v44                                     // 0000000098C4: 7E5A032C
	v_pk_fma_f32 v[224:225], v[96:97], v[44:45], v[224:225]    // 0000000098C8: D3B040E0 1F825960
	v_pk_fma_f32 v[226:227], v[98:99], v[44:45], v[226:227]    // 0000000098D0: D3B040E2 1F8A5962
	v_pk_fma_f32 v[232:233], v[104:105], v[44:45], v[232:233]  // 0000000098D8: D3B040E8 1FA25968
	v_pk_fma_f32 v[234:235], v[106:107], v[44:45], v[234:235]  // 0000000098E0: D3B040EA 1FAA596A
	v_mul_f32_dpp v44, v23, v136 row_newbcast:3 row_mask:0xf bank_mask:0xf// 0000000098E8: 0A5910FA FF015317
	v_mov_b32_e32 v45, v44                                     // 0000000098F0: 7E5A032C
	v_pk_fma_f32 v[240:241], v[112:113], v[44:45], v[240:241]  // 0000000098F4: D3B040F0 1FC25970
	v_pk_fma_f32 v[242:243], v[114:115], v[44:45], v[242:243]  // 0000000098FC: D3B040F2 1FCA5972
	v_pk_fma_f32 v[248:249], v[120:121], v[44:45], v[248:249]  // 000000009904: D3B040F8 1FE25978
	v_pk_fma_f32 v[250:251], v[122:123], v[44:45], v[250:251]  // 00000000990C: D3B040FA 1FEA597A
	v_mul_f32_dpp v44, v23, v137 row_newbcast:2 row_mask:0xf bank_mask:0xf// 000000009914: 0A5912FA FF015217
	v_mov_b32_e32 v45, v44                                     // 00000000991C: 7E5A032C
	v_pk_fma_f32 v[228:229], v[100:101], v[44:45], v[228:229]  // 000000009920: D3B040E4 1F925964
	v_pk_fma_f32 v[230:231], v[102:103], v[44:45], v[230:231]  // 000000009928: D3B040E6 1F9A5966
	v_pk_fma_f32 v[236:237], v[108:109], v[44:45], v[236:237]  // 000000009930: D3B040EC 1FB2596C
	v_pk_fma_f32 v[238:239], v[110:111], v[44:45], v[238:239]  // 000000009938: D3B040EE 1FBA596E
	v_mul_f32_dpp v44, v23, v137 row_newbcast:3 row_mask:0xf bank_mask:0xf// 000000009940: 0A5912FA FF015317
	v_mov_b32_e32 v45, v44                                     // 000000009948: 7E5A032C
	v_pk_fma_f32 v[244:245], v[116:117], v[44:45], v[244:245]  // 00000000994C: D3B040F4 1FD25974
	v_pk_fma_f32 v[246:247], v[118:119], v[44:45], v[246:247]  // 000000009954: D3B040F6 1FDA5976
	v_pk_fma_f32 v[252:253], v[124:125], v[44:45], v[252:253]  // 00000000995C: D3B040FC 1FF2597C
	v_pk_fma_f32 v[254:255], v[126:127], v[44:45], v[254:255]  // 000000009964: D3B040FE 1FFA597E
	s_waitcnt vmcnt(21)                                        // 00000000996C: BF8C4F75
	v_mfma_f32_16x16x128_f8f6f4 v[96:99], a[160:167], v[160:167], 0// 000000009970: D3AD0060 0A0341A0
	buffer_load_dwordx4 a[64:67], v40, s[12:15], 0 offen       // 000000009978: E05C1000 80834028
	buffer_load_dwordx4 a[68:71], v40, s[12:15], 0 offen offset:1024// 000000009980: E05C1400 80834428
	v_mfma_f32_16x16x128_f8f6f4 v[100:103], a[160:167], v[184:191], 0// 000000009988: D3AD0064 0A0371A0
	v_mfma_f32_16x16x128_f8f6f4 v[104:107], a[168:175], v[160:167], 0// 000000009990: D3AD0068 0A0341A8
	buffer_load_dwordx4 a[72:75], v41, s[12:15], 0 offen       // 000000009998: E05C1000 80834829
	buffer_load_dwordx4 a[76:79], v41, s[12:15], 0 offen offset:1024// 0000000099A0: E05C1400 80834C29
	v_mfma_f32_16x16x128_f8f6f4 v[108:111], a[168:175], v[184:191], 0// 0000000099A8: D3AD006C 0A0371A8
	s_waitcnt vmcnt(21)                                        // 0000000099B0: BF8C4F75
	v_mfma_f32_16x16x128_f8f6f4 v[112:115], a[176:183], v[160:167], 0// 0000000099B4: D3AD0070 0A0341B0
	buffer_load_dwordx4 a[80:83], v42, s[12:15], 0 offen       // 0000000099BC: E05C1000 8083502A
	buffer_load_dwordx4 a[84:87], v42, s[12:15], 0 offen offset:1024// 0000000099C4: E05C1400 8083542A
	v_mfma_f32_16x16x128_f8f6f4 v[116:119], a[176:183], v[184:191], 0// 0000000099CC: D3AD0074 0A0371B0
	v_mfma_f32_16x16x128_f8f6f4 v[120:123], a[184:191], v[160:167], 0// 0000000099D4: D3AD0078 0A0341B8
	buffer_load_dwordx4 a[88:91], v43, s[12:15], 0 offen       // 0000000099DC: E05C1000 8083582B
	buffer_load_dwordx4 a[92:95], v43, s[12:15], 0 offen offset:1024// 0000000099E4: E05C1400 80835C2B
	v_mfma_f32_16x16x128_f8f6f4 v[124:127], a[184:191], v[184:191], 0// 0000000099EC: D3AD007C 0A0371B8
	v_mul_f32_dpp v44, v23, v138 row_newbcast:4 row_mask:0xf bank_mask:0xf// 0000000099F4: 0A5914FA FF015417
	v_mov_b32_e32 v45, v44                                     // 0000000099FC: 7E5A032C
	v_pk_fma_f32 v[224:225], v[96:97], v[44:45], v[224:225]    // 000000009A00: D3B040E0 1F825960
	v_pk_fma_f32 v[226:227], v[98:99], v[44:45], v[226:227]    // 000000009A08: D3B040E2 1F8A5962
	v_pk_fma_f32 v[232:233], v[104:105], v[44:45], v[232:233]  // 000000009A10: D3B040E8 1FA25968
	v_pk_fma_f32 v[234:235], v[106:107], v[44:45], v[234:235]  // 000000009A18: D3B040EA 1FAA596A
	v_mul_f32_dpp v44, v23, v138 row_newbcast:5 row_mask:0xf bank_mask:0xf// 000000009A20: 0A5914FA FF015517
	v_mov_b32_e32 v45, v44                                     // 000000009A28: 7E5A032C
	v_pk_fma_f32 v[240:241], v[112:113], v[44:45], v[240:241]  // 000000009A2C: D3B040F0 1FC25970
	v_pk_fma_f32 v[242:243], v[114:115], v[44:45], v[242:243]  // 000000009A34: D3B040F2 1FCA5972
	v_pk_fma_f32 v[248:249], v[120:121], v[44:45], v[248:249]  // 000000009A3C: D3B040F8 1FE25978
	v_pk_fma_f32 v[250:251], v[122:123], v[44:45], v[250:251]  // 000000009A44: D3B040FA 1FEA597A
	v_mul_f32_dpp v44, v23, v139 row_newbcast:4 row_mask:0xf bank_mask:0xf// 000000009A4C: 0A5916FA FF015417
	v_mov_b32_e32 v45, v44                                     // 000000009A54: 7E5A032C
	v_pk_fma_f32 v[228:229], v[100:101], v[44:45], v[228:229]  // 000000009A58: D3B040E4 1F925964
	v_pk_fma_f32 v[230:231], v[102:103], v[44:45], v[230:231]  // 000000009A60: D3B040E6 1F9A5966
	v_pk_fma_f32 v[236:237], v[108:109], v[44:45], v[236:237]  // 000000009A68: D3B040EC 1FB2596C
	v_pk_fma_f32 v[238:239], v[110:111], v[44:45], v[238:239]  // 000000009A70: D3B040EE 1FBA596E
	v_mul_f32_dpp v44, v23, v139 row_newbcast:5 row_mask:0xf bank_mask:0xf// 000000009A78: 0A5916FA FF015517
	v_mov_b32_e32 v45, v44                                     // 000000009A80: 7E5A032C
	v_pk_fma_f32 v[244:245], v[116:117], v[44:45], v[244:245]  // 000000009A84: D3B040F4 1FD25974
	v_pk_fma_f32 v[246:247], v[118:119], v[44:45], v[246:247]  // 000000009A8C: D3B040F6 1FDA5976
	v_pk_fma_f32 v[252:253], v[124:125], v[44:45], v[252:253]  // 000000009A94: D3B040FC 1FF2597C
	v_pk_fma_f32 v[254:255], v[126:127], v[44:45], v[254:255]  // 000000009A9C: D3B040FE 1FFA597E
	s_add_u32 s60, 0x200, s80                                  // 000000009AA4: 803C50FF 00000200
	s_cmp_lt_u32 s60, s81                                      // 000000009AAC: BF0A513C
	s_cselect_b32 s56, s56, 0                                  // 000000009AB0: 85388038
	s_cselect_b32 s78, s78, 0                                  // 000000009AB4: 854E804E
	s_cselect_b32 s79, s79, 0                                  // 000000009AB8: 854F804F
	s_add_u32 s12, s56, s12                                    // 000000009ABC: 800C0C38
	s_addc_u32 s13, 0, s13                                     // 000000009AC0: 820D0D80
	s_add_u32 s16, s79, s16                                    // 000000009AC4: 8010104F
	s_addc_u32 s17, 0, s17                                     // 000000009AC8: 82111180
	v_mov_b32_e32 v44, v24                                     // 000000009ACC: 7E580318
	v_mov_b32_e32 v45, v24                                     // 000000009AD0: 7E5A0318
	v_pk_mul_f32 v[224:225], v[44:45], v[224:225]              // 000000009AD4: D3B140E0 1803C12C
	v_pk_mul_f32 v[226:227], v[44:45], v[226:227]              // 000000009ADC: D3B140E2 1803C52C
	v_pk_mul_f32 v[232:233], v[44:45], v[232:233]              // 000000009AE4: D3B140E8 1803D12C
	v_pk_mul_f32 v[234:235], v[44:45], v[234:235]              // 000000009AEC: D3B140EA 1803D52C
	v_pk_mul_f32 v[240:241], v[44:45], v[240:241]              // 000000009AF4: D3B140F0 1803E12C
	v_pk_mul_f32 v[242:243], v[44:45], v[242:243]              // 000000009AFC: D3B140F2 1803E52C
	v_pk_mul_f32 v[248:249], v[44:45], v[248:249]              // 000000009B04: D3B140F8 1803F12C
	v_pk_mul_f32 v[250:251], v[44:45], v[250:251]              // 000000009B0C: D3B140FA 1803F52C
	v_mov_b32_e32 v44, v25                                     // 000000009B14: 7E580319
	v_mov_b32_e32 v45, v25                                     // 000000009B18: 7E5A0319
	v_pk_mul_f32 v[228:229], v[44:45], v[228:229]              // 000000009B1C: D3B140E4 1803C92C
	v_pk_mul_f32 v[230:231], v[44:45], v[230:231]              // 000000009B24: D3B140E6 1803CD2C
	v_pk_mul_f32 v[236:237], v[44:45], v[236:237]              // 000000009B2C: D3B140EC 1803D92C
	v_pk_mul_f32 v[238:239], v[44:45], v[238:239]              // 000000009B34: D3B140EE 1803DD2C
	v_pk_mul_f32 v[244:245], v[44:45], v[244:245]              // 000000009B3C: D3B140F4 1803E92C
	v_pk_mul_f32 v[246:247], v[44:45], v[246:247]              // 000000009B44: D3B140F6 1803ED2C
	v_pk_mul_f32 v[252:253], v[44:45], v[252:253]              // 000000009B4C: D3B140FC 1803F92C
	v_pk_mul_f32 v[254:255], v[44:45], v[254:255]              // 000000009B54: D3B140FE 1803FD2C
	v_cvt_pk_bf16_f32 v224, v224, v225                         // 000000009B5C: D26800E0 0003C3E0
	v_cvt_pk_bf16_f32 v225, v226, v227                         // 000000009B64: D26800E1 0003C7E2
	v_cvt_pk_bf16_f32 v226, v228, v229                         // 000000009B6C: D26800E2 0003CBE4
	v_cvt_pk_bf16_f32 v227, v230, v231                         // 000000009B74: D26800E3 0003CFE6
	v_cvt_pk_bf16_f32 v228, v232, v233                         // 000000009B7C: D26800E4 0003D3E8
	v_cvt_pk_bf16_f32 v229, v234, v235                         // 000000009B84: D26800E5 0003D7EA
	v_cvt_pk_bf16_f32 v230, v236, v237                         // 000000009B8C: D26800E6 0003DBEC
	v_cvt_pk_bf16_f32 v231, v238, v239                         // 000000009B94: D26800E7 0003DFEE
	v_cvt_pk_bf16_f32 v232, v240, v241                         // 000000009B9C: D26800E8 0003E3F0
	v_cvt_pk_bf16_f32 v233, v242, v243                         // 000000009BA4: D26800E9 0003E7F2
	v_cvt_pk_bf16_f32 v234, v244, v245                         // 000000009BAC: D26800EA 0003EBF4
	v_cvt_pk_bf16_f32 v235, v246, v247                         // 000000009BB4: D26800EB 0003EFF6
	v_cvt_pk_bf16_f32 v236, v248, v249                         // 000000009BBC: D26800EC 0003F3F8
	v_cvt_pk_bf16_f32 v237, v250, v251                         // 000000009BC4: D26800ED 0003F7FA
	v_cvt_pk_bf16_f32 v238, v252, v253                         // 000000009BCC: D26800EE 0003FBFC
	v_cvt_pk_bf16_f32 v239, v254, v255                         // 000000009BD4: D26800EF 0003FFFE
	s_cmp_ge_u32 s80, 0x200                                    // 000000009BDC: BF09FF50 00000200
	s_cselect_b32 s59, 0x200, s59                              // 000000009BE4: 853B3BFF 00000200
	s_setvskip s20, 0                                          // 000000009BEC: BF108014
	global_atomic_pk_add_bf16 v64, v48, s[8:9]                 // 000000009BF0: DD488000 00083040
	s_setvskip 0, 0                                            // 000000009BF8: BF108080
	s_setvskip s20, 0                                          // 000000009BFC: BF108014
	global_atomic_pk_add_bf16 v64, v49, s[8:9] offset:256      // 000000009C00: DD488100 00083140
	s_setvskip 0, 0                                            // 000000009C08: BF108080
	s_setvskip s20, 1                                          // 000000009C0C: BF108114
	global_atomic_pk_add_bf16 v66, v50, s[8:9]                 // 000000009C10: DD488000 00083242
	s_setvskip 0, 0                                            // 000000009C18: BF108080
	s_setvskip s20, 1                                          // 000000009C1C: BF108114
	global_atomic_pk_add_bf16 v66, v51, s[8:9] offset:256      // 000000009C20: DD488100 00083342
	s_setvskip 0, 0                                            // 000000009C28: BF108080
	s_setvskip s20, 2                                          // 000000009C2C: BF108214
	global_atomic_pk_add_bf16 v68, v52, s[8:9]                 // 000000009C30: DD488000 00083444
	s_setvskip 0, 0                                            // 000000009C38: BF108080
	s_setvskip s20, 2                                          // 000000009C3C: BF108214
	global_atomic_pk_add_bf16 v68, v53, s[8:9] offset:256      // 000000009C40: DD488100 00083544
	s_setvskip 0, 0                                            // 000000009C48: BF108080
	s_setvskip s20, 3                                          // 000000009C4C: BF108314
	global_atomic_pk_add_bf16 v70, v54, s[8:9]                 // 000000009C50: DD488000 00083646
	s_setvskip 0, 0                                            // 000000009C58: BF108080
	s_setvskip s20, 3                                          // 000000009C5C: BF108314
	global_atomic_pk_add_bf16 v70, v55, s[8:9] offset:256      // 000000009C60: DD488100 00083746
	s_setvskip 0, 0                                            // 000000009C68: BF108080
	s_setvskip s20, 4                                          // 000000009C6C: BF108414
	global_atomic_pk_add_bf16 v72, v56, s[8:9]                 // 000000009C70: DD488000 00083848
	s_setvskip 0, 0                                            // 000000009C78: BF108080
	s_setvskip s20, 4                                          // 000000009C7C: BF108414
	global_atomic_pk_add_bf16 v72, v57, s[8:9] offset:256      // 000000009C80: DD488100 00083948
	s_setvskip 0, 0                                            // 000000009C88: BF108080
	s_setvskip s20, 5                                          // 000000009C8C: BF108514
	global_atomic_pk_add_bf16 v74, v58, s[8:9]                 // 000000009C90: DD488000 00083A4A
	s_setvskip 0, 0                                            // 000000009C98: BF108080
	s_setvskip s20, 5                                          // 000000009C9C: BF108514
	global_atomic_pk_add_bf16 v74, v59, s[8:9] offset:256      // 000000009CA0: DD488100 00083B4A
	s_setvskip 0, 0                                            // 000000009CA8: BF108080
	s_setvskip s20, 6                                          // 000000009CAC: BF108614
	global_atomic_pk_add_bf16 v76, v60, s[8:9]                 // 000000009CB0: DD488000 00083C4C
	s_setvskip 0, 0                                            // 000000009CB8: BF108080
	s_setvskip s20, 6                                          // 000000009CBC: BF108614
	global_atomic_pk_add_bf16 v76, v61, s[8:9] offset:256      // 000000009CC0: DD488100 00083D4C
	s_setvskip 0, 0                                            // 000000009CC8: BF108080
	s_setvskip s20, 7                                          // 000000009CCC: BF108714
	global_atomic_pk_add_bf16 v78, v62, s[8:9]                 // 000000009CD0: DD488000 00083E4E
	s_setvskip 0, 0                                            // 000000009CD8: BF108080
	s_setvskip s20, 7                                          // 000000009CDC: BF108714
	global_atomic_pk_add_bf16 v78, v63, s[8:9] offset:256      // 000000009CE0: DD488100 00083F4E
	s_setvskip 0, 0                                            // 000000009CE8: BF108080
	s_add_u32 s8, s59, s8                                      // 000000009CEC: 8008083B
	s_addc_u32 s9, 0, s9                                       // 000000009CF0: 82090980
	s_addk_i32 s80, 0x100                                      // 000000009CF4: B7500100
	s_cmp_lt_i32 s80, s81                                      // 000000009CF8: BF045150
	s_cbranch_scc0 label_0F66                                  // 000000009CFC: BF84F3A6
	s_branch label_184A                                        // 000000009D00: BF82FC89

0000000000009d04 <label_1BC1>:
	s_cmp_ge_u32 s59, 0                                        // 000000009D04: BF09803B
	s_cselect_b32 s59, 0x200, s59                              // 000000009D08: 853B3BFF 00000200
	s_waitcnt lgkmcnt(0)                                       // 000000009D10: BF8CC07F
	s_barrier                                                  // 000000009D14: BF8A0000
	s_cmp_eq_u32 s64, 0x100                                    // 000000009D18: BF06FF40 00000100
	s_cbranch_scc0 label_1C3D                                  // 000000009D20: BF840074
	ds_write_b64 v3, v[192:193] offset:20992                   // 000000009D24: D89A5200 0000C003
	ds_write_b64 v3, v[194:195] offset:29696                   // 000000009D2C: D89A7400 0000C203
	ds_write_b64 v3, v[196:197] offset:23168                   // 000000009D34: D89A5A80 0000C403
	ds_write_b64 v3, v[198:199] offset:31872                   // 000000009D3C: D89A7C80 0000C603
	ds_write_b64 v3, v[200:201] offset:25344                   // 000000009D44: D89A6300 0000C803
	ds_write_b64 v3, v[202:203] offset:34048                   // 000000009D4C: D89A8500 0000CA03
	ds_write_b64 v3, v[204:205] offset:27520                   // 000000009D54: D89A6B80 0000CC03
	ds_write_b64 v3, v[206:207] offset:36224                   // 000000009D5C: D89A8D80 0000CE03
	s_waitcnt lgkmcnt(0)                                       // 000000009D64: BF8CC07F
	s_barrier                                                  // 000000009D68: BF8A0000
	ds_read_b32 v48, v4 offset:20992                           // 000000009D6C: D86C5200 30000004
	ds_read_b32 v49, v4 offset:25344                           // 000000009D74: D86C6300 31000004
	ds_read_b32 v50, v4 offset:21000                           // 000000009D7C: D86C5208 32000004
	ds_read_b32 v51, v4 offset:25352                           // 000000009D84: D86C6308 33000004
	ds_read_b32 v52, v4 offset:21024                           // 000000009D8C: D86C5220 34000004
	ds_read_b32 v53, v4 offset:25376                           // 000000009D94: D86C6320 35000004
	ds_read_b32 v54, v4 offset:21032                           // 000000009D9C: D86C5228 36000004
	ds_read_b32 v55, v4 offset:25384                           // 000000009DA4: D86C6328 37000004
	ds_read_b32 v56, v4 offset:29696                           // 000000009DAC: D86C7400 38000004
	ds_read_b32 v57, v4 offset:34048                           // 000000009DB4: D86C8500 39000004
	ds_read_b32 v58, v4 offset:29704                           // 000000009DBC: D86C7408 3A000004
	ds_read_b32 v59, v4 offset:34056                           // 000000009DC4: D86C8508 3B000004
	ds_read_b32 v60, v4 offset:29728                           // 000000009DCC: D86C7420 3C000004
	ds_read_b32 v61, v4 offset:34080                           // 000000009DD4: D86C8520 3D000004
	ds_read_b32 v62, v4 offset:29736                           // 000000009DDC: D86C7428 3E000004
	ds_read_b32 v63, v4 offset:34088                           // 000000009DE4: D86C8528 3F000004
	s_waitcnt lgkmcnt(0)                                       // 000000009DEC: BF8CC07F
	s_setvskip s20, 0                                          // 000000009DF0: BF108014
	global_atomic_pk_add_bf16 v64, v48, s[8:9]                 // 000000009DF4: DD488000 00083040
	s_setvskip 0, 0                                            // 000000009DFC: BF108080
	s_setvskip s20, 0                                          // 000000009E00: BF108014
	global_atomic_pk_add_bf16 v64, v49, s[8:9] offset:256      // 000000009E04: DD488100 00083140
	s_setvskip 0, 0                                            // 000000009E0C: BF108080
	s_setvskip s20, 1                                          // 000000009E10: BF108114
	global_atomic_pk_add_bf16 v66, v50, s[8:9]                 // 000000009E14: DD488000 00083242
	s_setvskip 0, 0                                            // 000000009E1C: BF108080
	s_setvskip s20, 1                                          // 000000009E20: BF108114
	global_atomic_pk_add_bf16 v66, v51, s[8:9] offset:256      // 000000009E24: DD488100 00083342
	s_setvskip 0, 0                                            // 000000009E2C: BF108080
	s_setvskip s20, 2                                          // 000000009E30: BF108214
	global_atomic_pk_add_bf16 v68, v52, s[8:9]                 // 000000009E34: DD488000 00083444
	s_setvskip 0, 0                                            // 000000009E3C: BF108080
	s_setvskip s20, 2                                          // 000000009E40: BF108214
	global_atomic_pk_add_bf16 v68, v53, s[8:9] offset:256      // 000000009E44: DD488100 00083544
	s_setvskip 0, 0                                            // 000000009E4C: BF108080
	s_setvskip s20, 3                                          // 000000009E50: BF108314
	global_atomic_pk_add_bf16 v70, v54, s[8:9]                 // 000000009E54: DD488000 00083646
	s_setvskip 0, 0                                            // 000000009E5C: BF108080
	s_setvskip s20, 3                                          // 000000009E60: BF108314
	global_atomic_pk_add_bf16 v70, v55, s[8:9] offset:256      // 000000009E64: DD488100 00083746
	s_setvskip 0, 0                                            // 000000009E6C: BF108080
	s_setvskip s20, 4                                          // 000000009E70: BF108414
	global_atomic_pk_add_bf16 v72, v56, s[8:9]                 // 000000009E74: DD488000 00083848
	s_setvskip 0, 0                                            // 000000009E7C: BF108080
	s_setvskip s20, 4                                          // 000000009E80: BF108414
	global_atomic_pk_add_bf16 v72, v57, s[8:9] offset:256      // 000000009E84: DD488100 00083948
	s_setvskip 0, 0                                            // 000000009E8C: BF108080
	s_setvskip s20, 5                                          // 000000009E90: BF108514
	global_atomic_pk_add_bf16 v74, v58, s[8:9]                 // 000000009E94: DD488000 00083A4A
	s_setvskip 0, 0                                            // 000000009E9C: BF108080
	s_setvskip s20, 5                                          // 000000009EA0: BF108514
	global_atomic_pk_add_bf16 v74, v59, s[8:9] offset:256      // 000000009EA4: DD488100 00083B4A
	s_setvskip 0, 0                                            // 000000009EAC: BF108080
	s_setvskip s20, 6                                          // 000000009EB0: BF108614
	global_atomic_pk_add_bf16 v76, v60, s[8:9]                 // 000000009EB4: DD488000 00083C4C
	s_setvskip 0, 0                                            // 000000009EBC: BF108080
	s_setvskip s20, 6                                          // 000000009EC0: BF108614
	global_atomic_pk_add_bf16 v76, v61, s[8:9] offset:256      // 000000009EC4: DD488100 00083D4C
	s_setvskip 0, 0                                            // 000000009ECC: BF108080
	s_setvskip s20, 7                                          // 000000009ED0: BF108714
	global_atomic_pk_add_bf16 v78, v62, s[8:9]                 // 000000009ED4: DD488000 00083E4E
	s_setvskip 0, 0                                            // 000000009EDC: BF108080
	s_setvskip s20, 7                                          // 000000009EE0: BF108714
	global_atomic_pk_add_bf16 v78, v63, s[8:9] offset:256      // 000000009EE4: DD488100 00083F4E
	s_setvskip 0, 0                                            // 000000009EEC: BF108080
	s_branch label_1D13                                        // 000000009EF0: BF8200D6

0000000000009ef4 <label_1C3D>:
	ds_read_b32 v48, v4 offset:20992                           // 000000009EF4: D86C5200 30000004
	ds_read_b32 v49, v4 offset:25344                           // 000000009EFC: D86C6300 31000004
	ds_read_b32 v50, v4 offset:21000                           // 000000009F04: D86C5208 32000004
	ds_read_b32 v51, v4 offset:25352                           // 000000009F0C: D86C6308 33000004
	ds_read_b32 v52, v4 offset:21024                           // 000000009F14: D86C5220 34000004
	ds_read_b32 v53, v4 offset:25376                           // 000000009F1C: D86C6320 35000004
	ds_read_b32 v54, v4 offset:21032                           // 000000009F24: D86C5228 36000004
	ds_read_b32 v55, v4 offset:25384                           // 000000009F2C: D86C6328 37000004
	ds_read_b32 v56, v4 offset:29696                           // 000000009F34: D86C7400 38000004
	ds_read_b32 v57, v4 offset:34048                           // 000000009F3C: D86C8500 39000004
	ds_read_b32 v58, v4 offset:29704                           // 000000009F44: D86C7408 3A000004
	ds_read_b32 v59, v4 offset:34056                           // 000000009F4C: D86C8508 3B000004
	ds_read_b32 v60, v4 offset:29728                           // 000000009F54: D86C7420 3C000004
	ds_read_b32 v61, v4 offset:34080                           // 000000009F5C: D86C8520 3D000004
	ds_read_b32 v62, v4 offset:29736                           // 000000009F64: D86C7428 3E000004
	ds_read_b32 v63, v4 offset:34088                           // 000000009F6C: D86C8528 3F000004
	s_waitcnt lgkmcnt(0)                                       // 000000009F74: BF8CC07F
	s_setvskip s20, 0                                          // 000000009F78: BF108014
	global_atomic_pk_add_bf16 v64, v48, s[8:9]                 // 000000009F7C: DD488000 00083040
	s_setvskip 0, 0                                            // 000000009F84: BF108080
	s_setvskip s20, 0                                          // 000000009F88: BF108014
	global_atomic_pk_add_bf16 v64, v49, s[8:9] offset:256      // 000000009F8C: DD488100 00083140
	s_setvskip 0, 0                                            // 000000009F94: BF108080
	s_setvskip s20, 1                                          // 000000009F98: BF108114
	global_atomic_pk_add_bf16 v66, v50, s[8:9]                 // 000000009F9C: DD488000 00083242
	s_setvskip 0, 0                                            // 000000009FA4: BF108080
	s_setvskip s20, 1                                          // 000000009FA8: BF108114
	global_atomic_pk_add_bf16 v66, v51, s[8:9] offset:256      // 000000009FAC: DD488100 00083342
	s_setvskip 0, 0                                            // 000000009FB4: BF108080
	s_setvskip s20, 2                                          // 000000009FB8: BF108214
	global_atomic_pk_add_bf16 v68, v52, s[8:9]                 // 000000009FBC: DD488000 00083444
	s_setvskip 0, 0                                            // 000000009FC4: BF108080
	s_setvskip s20, 2                                          // 000000009FC8: BF108214
	global_atomic_pk_add_bf16 v68, v53, s[8:9] offset:256      // 000000009FCC: DD488100 00083544
	s_setvskip 0, 0                                            // 000000009FD4: BF108080
	s_setvskip s20, 3                                          // 000000009FD8: BF108314
	global_atomic_pk_add_bf16 v70, v54, s[8:9]                 // 000000009FDC: DD488000 00083646
	s_setvskip 0, 0                                            // 000000009FE4: BF108080
	s_setvskip s20, 3                                          // 000000009FE8: BF108314
	global_atomic_pk_add_bf16 v70, v55, s[8:9] offset:256      // 000000009FEC: DD488100 00083746
	s_setvskip 0, 0                                            // 000000009FF4: BF108080
	s_setvskip s20, 4                                          // 000000009FF8: BF108414
	global_atomic_pk_add_bf16 v72, v56, s[8:9]                 // 000000009FFC: DD488000 00083848
	s_setvskip 0, 0                                            // 00000000A004: BF108080
	s_setvskip s20, 4                                          // 00000000A008: BF108414
	global_atomic_pk_add_bf16 v72, v57, s[8:9] offset:256      // 00000000A00C: DD488100 00083948
	s_setvskip 0, 0                                            // 00000000A014: BF108080
	s_setvskip s20, 5                                          // 00000000A018: BF108514
	global_atomic_pk_add_bf16 v74, v58, s[8:9]                 // 00000000A01C: DD488000 00083A4A
	s_setvskip 0, 0                                            // 00000000A024: BF108080
	s_setvskip s20, 5                                          // 00000000A028: BF108514
	global_atomic_pk_add_bf16 v74, v59, s[8:9] offset:256      // 00000000A02C: DD488100 00083B4A
	s_setvskip 0, 0                                            // 00000000A034: BF108080
	s_setvskip s20, 6                                          // 00000000A038: BF108614
	global_atomic_pk_add_bf16 v76, v60, s[8:9]                 // 00000000A03C: DD488000 00083C4C
	s_setvskip 0, 0                                            // 00000000A044: BF108080
	s_setvskip s20, 6                                          // 00000000A048: BF108614
	global_atomic_pk_add_bf16 v76, v61, s[8:9] offset:256      // 00000000A04C: DD488100 00083D4C
	s_setvskip 0, 0                                            // 00000000A054: BF108080
	s_setvskip s20, 7                                          // 00000000A058: BF108714
	global_atomic_pk_add_bf16 v78, v62, s[8:9]                 // 00000000A05C: DD488000 00083E4E
	s_setvskip 0, 0                                            // 00000000A064: BF108080
	s_setvskip s20, 7                                          // 00000000A068: BF108714
	global_atomic_pk_add_bf16 v78, v63, s[8:9] offset:256      // 00000000A06C: DD488100 00083F4E
	s_setvskip 0, 0                                            // 00000000A074: BF108080
	s_add_u32 s8, s59, s8                                      // 00000000A078: 8008083B
	s_addc_u32 s9, 0, s9                                       // 00000000A07C: 82090980
	ds_write_b64 v3, v[224:225] offset:38400                   // 00000000A080: D89A9600 0000E003
	ds_write_b64 v3, v[226:227] offset:47104                   // 00000000A088: D89AB800 0000E203
	ds_write_b64 v3, v[228:229] offset:40576                   // 00000000A090: D89A9E80 0000E403
	ds_write_b64 v3, v[230:231] offset:49280                   // 00000000A098: D89AC080 0000E603
	ds_write_b64 v3, v[232:233] offset:42752                   // 00000000A0A0: D89AA700 0000E803
	ds_write_b64 v3, v[234:235] offset:51456                   // 00000000A0A8: D89AC900 0000EA03
	ds_write_b64 v3, v[236:237] offset:44928                   // 00000000A0B0: D89AAF80 0000EC03
	ds_write_b64 v3, v[238:239] offset:53632                   // 00000000A0B8: D89AD180 0000EE03
	s_waitcnt lgkmcnt(0)                                       // 00000000A0C0: BF8CC07F
	s_barrier                                                  // 00000000A0C4: BF8A0000
	ds_read_b32 v48, v4 offset:38400                           // 00000000A0C8: D86C9600 30000004
	ds_read_b32 v49, v4 offset:42752                           // 00000000A0D0: D86CA700 31000004
	ds_read_b32 v50, v4 offset:38408                           // 00000000A0D8: D86C9608 32000004
	ds_read_b32 v51, v4 offset:42760                           // 00000000A0E0: D86CA708 33000004
	ds_read_b32 v52, v4 offset:38432                           // 00000000A0E8: D86C9620 34000004
	ds_read_b32 v53, v4 offset:42784                           // 00000000A0F0: D86CA720 35000004
	ds_read_b32 v54, v4 offset:38440                           // 00000000A0F8: D86C9628 36000004
	ds_read_b32 v55, v4 offset:42792                           // 00000000A100: D86CA728 37000004
	ds_read_b32 v56, v4 offset:47104                           // 00000000A108: D86CB800 38000004
	ds_read_b32 v57, v4 offset:51456                           // 00000000A110: D86CC900 39000004
	ds_read_b32 v58, v4 offset:47112                           // 00000000A118: D86CB808 3A000004
	ds_read_b32 v59, v4 offset:51464                           // 00000000A120: D86CC908 3B000004
	ds_read_b32 v60, v4 offset:47136                           // 00000000A128: D86CB820 3C000004
	ds_read_b32 v61, v4 offset:51488                           // 00000000A130: D86CC920 3D000004
	ds_read_b32 v62, v4 offset:47144                           // 00000000A138: D86CB828 3E000004
	ds_read_b32 v63, v4 offset:51496                           // 00000000A140: D86CC928 3F000004
	s_waitcnt lgkmcnt(0)                                       // 00000000A148: BF8CC07F
	s_setvskip s20, 0                                          // 00000000A14C: BF108014
	global_atomic_pk_add_bf16 v64, v48, s[8:9]                 // 00000000A150: DD488000 00083040
	s_setvskip 0, 0                                            // 00000000A158: BF108080
	s_setvskip s20, 0                                          // 00000000A15C: BF108014
	global_atomic_pk_add_bf16 v64, v49, s[8:9] offset:256      // 00000000A160: DD488100 00083140
	s_setvskip 0, 0                                            // 00000000A168: BF108080
	s_setvskip s20, 1                                          // 00000000A16C: BF108114
	global_atomic_pk_add_bf16 v66, v50, s[8:9]                 // 00000000A170: DD488000 00083242
	s_setvskip 0, 0                                            // 00000000A178: BF108080
	s_setvskip s20, 1                                          // 00000000A17C: BF108114
	global_atomic_pk_add_bf16 v66, v51, s[8:9] offset:256      // 00000000A180: DD488100 00083342
	s_setvskip 0, 0                                            // 00000000A188: BF108080
	s_setvskip s20, 2                                          // 00000000A18C: BF108214
	global_atomic_pk_add_bf16 v68, v52, s[8:9]                 // 00000000A190: DD488000 00083444
	s_setvskip 0, 0                                            // 00000000A198: BF108080
	s_setvskip s20, 2                                          // 00000000A19C: BF108214
	global_atomic_pk_add_bf16 v68, v53, s[8:9] offset:256      // 00000000A1A0: DD488100 00083544
	s_setvskip 0, 0                                            // 00000000A1A8: BF108080
	s_setvskip s20, 3                                          // 00000000A1AC: BF108314
	global_atomic_pk_add_bf16 v70, v54, s[8:9]                 // 00000000A1B0: DD488000 00083646
	s_setvskip 0, 0                                            // 00000000A1B8: BF108080
	s_setvskip s20, 3                                          // 00000000A1BC: BF108314
	global_atomic_pk_add_bf16 v70, v55, s[8:9] offset:256      // 00000000A1C0: DD488100 00083746
	s_setvskip 0, 0                                            // 00000000A1C8: BF108080
	s_setvskip s20, 4                                          // 00000000A1CC: BF108414
	global_atomic_pk_add_bf16 v72, v56, s[8:9]                 // 00000000A1D0: DD488000 00083848
	s_setvskip 0, 0                                            // 00000000A1D8: BF108080
	s_setvskip s20, 4                                          // 00000000A1DC: BF108414
	global_atomic_pk_add_bf16 v72, v57, s[8:9] offset:256      // 00000000A1E0: DD488100 00083948
	s_setvskip 0, 0                                            // 00000000A1E8: BF108080
	s_setvskip s20, 5                                          // 00000000A1EC: BF108514
	global_atomic_pk_add_bf16 v74, v58, s[8:9]                 // 00000000A1F0: DD488000 00083A4A
	s_setvskip 0, 0                                            // 00000000A1F8: BF108080
	s_setvskip s20, 5                                          // 00000000A1FC: BF108514
	global_atomic_pk_add_bf16 v74, v59, s[8:9] offset:256      // 00000000A200: DD488100 00083B4A
	s_setvskip 0, 0                                            // 00000000A208: BF108080
	s_setvskip s20, 6                                          // 00000000A20C: BF108614
	global_atomic_pk_add_bf16 v76, v60, s[8:9]                 // 00000000A210: DD488000 00083C4C
	s_setvskip 0, 0                                            // 00000000A218: BF108080
	s_setvskip s20, 6                                          // 00000000A21C: BF108614
	global_atomic_pk_add_bf16 v76, v61, s[8:9] offset:256      // 00000000A220: DD488100 00083D4C
	s_setvskip 0, 0                                            // 00000000A228: BF108080
	s_setvskip s20, 7                                          // 00000000A22C: BF108714
	global_atomic_pk_add_bf16 v78, v62, s[8:9]                 // 00000000A230: DD488000 00083E4E
	s_setvskip 0, 0                                            // 00000000A238: BF108080
	s_setvskip s20, 7                                          // 00000000A23C: BF108714
	global_atomic_pk_add_bf16 v78, v63, s[8:9] offset:256      // 00000000A240: DD488100 00083F4E
	s_setvskip 0, 0                                            // 00000000A248: BF108080

000000000000a24c <label_1D13>:
	s_waitcnt vmcnt(0) expcnt(0) lgkmcnt(0)                    // 00000000A24C: BF8C0000
	s_endpgm                                                   // 00000000A250: BF810000
